;; amdgpu-corpus repo=ROCm/rocFFT kind=compiled arch=gfx906 opt=O3
	.text
	.amdgcn_target "amdgcn-amd-amdhsa--gfx906"
	.amdhsa_code_object_version 6
	.protected	fft_rtc_fwd_len1176_factors_2_2_2_3_7_7_wgs_56_tpt_56_halfLds_half_ip_CI_unitstride_sbrr_dirReg ; -- Begin function fft_rtc_fwd_len1176_factors_2_2_2_3_7_7_wgs_56_tpt_56_halfLds_half_ip_CI_unitstride_sbrr_dirReg
	.globl	fft_rtc_fwd_len1176_factors_2_2_2_3_7_7_wgs_56_tpt_56_halfLds_half_ip_CI_unitstride_sbrr_dirReg
	.p2align	8
	.type	fft_rtc_fwd_len1176_factors_2_2_2_3_7_7_wgs_56_tpt_56_halfLds_half_ip_CI_unitstride_sbrr_dirReg,@function
fft_rtc_fwd_len1176_factors_2_2_2_3_7_7_wgs_56_tpt_56_halfLds_half_ip_CI_unitstride_sbrr_dirReg: ; @fft_rtc_fwd_len1176_factors_2_2_2_3_7_7_wgs_56_tpt_56_halfLds_half_ip_CI_unitstride_sbrr_dirReg
; %bb.0:
	s_load_dwordx2 s[2:3], s[4:5], 0x50
	s_load_dwordx4 s[8:11], s[4:5], 0x0
	s_load_dwordx2 s[12:13], s[4:5], 0x18
	v_mul_u32_u24_e32 v1, 0x493, v0
	v_add_u32_sdwa v5, s6, v1 dst_sel:DWORD dst_unused:UNUSED_PAD src0_sel:DWORD src1_sel:WORD_1
	v_mov_b32_e32 v3, 0
	s_waitcnt lgkmcnt(0)
	v_cmp_lt_u64_e64 s[0:1], s[10:11], 2
	v_mov_b32_e32 v1, 0
	v_mov_b32_e32 v6, v3
	s_and_b64 vcc, exec, s[0:1]
	v_mov_b32_e32 v2, 0
	s_cbranch_vccnz .LBB0_8
; %bb.1:
	s_load_dwordx2 s[0:1], s[4:5], 0x10
	s_add_u32 s6, s12, 8
	s_addc_u32 s7, s13, 0
	v_mov_b32_e32 v1, 0
	v_mov_b32_e32 v2, 0
	s_waitcnt lgkmcnt(0)
	s_add_u32 s14, s0, 8
	s_addc_u32 s15, s1, 0
	s_mov_b64 s[16:17], 1
.LBB0_2:                                ; =>This Inner Loop Header: Depth=1
	s_load_dwordx2 s[18:19], s[14:15], 0x0
                                        ; implicit-def: $vgpr7_vgpr8
	s_waitcnt lgkmcnt(0)
	v_or_b32_e32 v4, s19, v6
	v_cmp_ne_u64_e32 vcc, 0, v[3:4]
	s_and_saveexec_b64 s[0:1], vcc
	s_xor_b64 s[20:21], exec, s[0:1]
	s_cbranch_execz .LBB0_4
; %bb.3:                                ;   in Loop: Header=BB0_2 Depth=1
	v_cvt_f32_u32_e32 v4, s18
	v_cvt_f32_u32_e32 v7, s19
	s_sub_u32 s0, 0, s18
	s_subb_u32 s1, 0, s19
	v_mac_f32_e32 v4, 0x4f800000, v7
	v_rcp_f32_e32 v4, v4
	v_mul_f32_e32 v4, 0x5f7ffffc, v4
	v_mul_f32_e32 v7, 0x2f800000, v4
	v_trunc_f32_e32 v7, v7
	v_mac_f32_e32 v4, 0xcf800000, v7
	v_cvt_u32_f32_e32 v7, v7
	v_cvt_u32_f32_e32 v4, v4
	v_mul_lo_u32 v8, s0, v7
	v_mul_hi_u32 v9, s0, v4
	v_mul_lo_u32 v11, s1, v4
	v_mul_lo_u32 v10, s0, v4
	v_add_u32_e32 v8, v9, v8
	v_add_u32_e32 v8, v8, v11
	v_mul_hi_u32 v9, v4, v10
	v_mul_lo_u32 v11, v4, v8
	v_mul_hi_u32 v13, v4, v8
	v_mul_hi_u32 v12, v7, v10
	v_mul_lo_u32 v10, v7, v10
	v_mul_hi_u32 v14, v7, v8
	v_add_co_u32_e32 v9, vcc, v9, v11
	v_addc_co_u32_e32 v11, vcc, 0, v13, vcc
	v_mul_lo_u32 v8, v7, v8
	v_add_co_u32_e32 v9, vcc, v9, v10
	v_addc_co_u32_e32 v9, vcc, v11, v12, vcc
	v_addc_co_u32_e32 v10, vcc, 0, v14, vcc
	v_add_co_u32_e32 v8, vcc, v9, v8
	v_addc_co_u32_e32 v9, vcc, 0, v10, vcc
	v_add_co_u32_e32 v4, vcc, v4, v8
	v_addc_co_u32_e32 v7, vcc, v7, v9, vcc
	v_mul_lo_u32 v8, s0, v7
	v_mul_hi_u32 v9, s0, v4
	v_mul_lo_u32 v10, s1, v4
	v_mul_lo_u32 v11, s0, v4
	v_add_u32_e32 v8, v9, v8
	v_add_u32_e32 v8, v8, v10
	v_mul_lo_u32 v12, v4, v8
	v_mul_hi_u32 v13, v4, v11
	v_mul_hi_u32 v14, v4, v8
	;; [unrolled: 1-line block ×3, first 2 shown]
	v_mul_lo_u32 v11, v7, v11
	v_mul_hi_u32 v9, v7, v8
	v_add_co_u32_e32 v12, vcc, v13, v12
	v_addc_co_u32_e32 v13, vcc, 0, v14, vcc
	v_mul_lo_u32 v8, v7, v8
	v_add_co_u32_e32 v11, vcc, v12, v11
	v_addc_co_u32_e32 v10, vcc, v13, v10, vcc
	v_addc_co_u32_e32 v9, vcc, 0, v9, vcc
	v_add_co_u32_e32 v8, vcc, v10, v8
	v_addc_co_u32_e32 v9, vcc, 0, v9, vcc
	v_add_co_u32_e32 v4, vcc, v4, v8
	v_addc_co_u32_e32 v9, vcc, v7, v9, vcc
	v_mad_u64_u32 v[7:8], s[0:1], v5, v9, 0
	v_mul_hi_u32 v10, v5, v4
	v_add_co_u32_e32 v11, vcc, v10, v7
	v_addc_co_u32_e32 v12, vcc, 0, v8, vcc
	v_mad_u64_u32 v[7:8], s[0:1], v6, v4, 0
	v_mad_u64_u32 v[9:10], s[0:1], v6, v9, 0
	v_add_co_u32_e32 v4, vcc, v11, v7
	v_addc_co_u32_e32 v4, vcc, v12, v8, vcc
	v_addc_co_u32_e32 v7, vcc, 0, v10, vcc
	v_add_co_u32_e32 v4, vcc, v4, v9
	v_addc_co_u32_e32 v9, vcc, 0, v7, vcc
	v_mul_lo_u32 v10, s19, v4
	v_mul_lo_u32 v11, s18, v9
	v_mad_u64_u32 v[7:8], s[0:1], s18, v4, 0
	v_add3_u32 v8, v8, v11, v10
	v_sub_u32_e32 v10, v6, v8
	v_mov_b32_e32 v11, s19
	v_sub_co_u32_e32 v7, vcc, v5, v7
	v_subb_co_u32_e64 v10, s[0:1], v10, v11, vcc
	v_subrev_co_u32_e64 v11, s[0:1], s18, v7
	v_subbrev_co_u32_e64 v10, s[0:1], 0, v10, s[0:1]
	v_cmp_le_u32_e64 s[0:1], s19, v10
	v_cndmask_b32_e64 v12, 0, -1, s[0:1]
	v_cmp_le_u32_e64 s[0:1], s18, v11
	v_cndmask_b32_e64 v11, 0, -1, s[0:1]
	v_cmp_eq_u32_e64 s[0:1], s19, v10
	v_cndmask_b32_e64 v10, v12, v11, s[0:1]
	v_add_co_u32_e64 v11, s[0:1], 2, v4
	v_addc_co_u32_e64 v12, s[0:1], 0, v9, s[0:1]
	v_add_co_u32_e64 v13, s[0:1], 1, v4
	v_addc_co_u32_e64 v14, s[0:1], 0, v9, s[0:1]
	v_subb_co_u32_e32 v8, vcc, v6, v8, vcc
	v_cmp_ne_u32_e64 s[0:1], 0, v10
	v_cmp_le_u32_e32 vcc, s19, v8
	v_cndmask_b32_e64 v10, v14, v12, s[0:1]
	v_cndmask_b32_e64 v12, 0, -1, vcc
	v_cmp_le_u32_e32 vcc, s18, v7
	v_cndmask_b32_e64 v7, 0, -1, vcc
	v_cmp_eq_u32_e32 vcc, s19, v8
	v_cndmask_b32_e32 v7, v12, v7, vcc
	v_cmp_ne_u32_e32 vcc, 0, v7
	v_cndmask_b32_e64 v7, v13, v11, s[0:1]
	v_cndmask_b32_e32 v8, v9, v10, vcc
	v_cndmask_b32_e32 v7, v4, v7, vcc
.LBB0_4:                                ;   in Loop: Header=BB0_2 Depth=1
	s_andn2_saveexec_b64 s[0:1], s[20:21]
	s_cbranch_execz .LBB0_6
; %bb.5:                                ;   in Loop: Header=BB0_2 Depth=1
	v_cvt_f32_u32_e32 v4, s18
	s_sub_i32 s20, 0, s18
	v_rcp_iflag_f32_e32 v4, v4
	v_mul_f32_e32 v4, 0x4f7ffffe, v4
	v_cvt_u32_f32_e32 v4, v4
	v_mul_lo_u32 v7, s20, v4
	v_mul_hi_u32 v7, v4, v7
	v_add_u32_e32 v4, v4, v7
	v_mul_hi_u32 v4, v5, v4
	v_mul_lo_u32 v7, v4, s18
	v_add_u32_e32 v8, 1, v4
	v_sub_u32_e32 v7, v5, v7
	v_subrev_u32_e32 v9, s18, v7
	v_cmp_le_u32_e32 vcc, s18, v7
	v_cndmask_b32_e32 v7, v7, v9, vcc
	v_cndmask_b32_e32 v4, v4, v8, vcc
	v_add_u32_e32 v8, 1, v4
	v_cmp_le_u32_e32 vcc, s18, v7
	v_cndmask_b32_e32 v7, v4, v8, vcc
	v_mov_b32_e32 v8, v3
.LBB0_6:                                ;   in Loop: Header=BB0_2 Depth=1
	s_or_b64 exec, exec, s[0:1]
	v_mul_lo_u32 v4, v8, s18
	v_mul_lo_u32 v11, v7, s19
	v_mad_u64_u32 v[9:10], s[0:1], v7, s18, 0
	s_load_dwordx2 s[0:1], s[6:7], 0x0
	s_add_u32 s16, s16, 1
	v_add3_u32 v4, v10, v11, v4
	v_sub_co_u32_e32 v5, vcc, v5, v9
	v_subb_co_u32_e32 v4, vcc, v6, v4, vcc
	s_waitcnt lgkmcnt(0)
	v_mul_lo_u32 v4, s0, v4
	v_mul_lo_u32 v6, s1, v5
	v_mad_u64_u32 v[1:2], s[0:1], s0, v5, v[1:2]
	s_addc_u32 s17, s17, 0
	s_add_u32 s6, s6, 8
	v_add3_u32 v2, v6, v2, v4
	v_mov_b32_e32 v4, s10
	v_mov_b32_e32 v5, s11
	s_addc_u32 s7, s7, 0
	v_cmp_ge_u64_e32 vcc, s[16:17], v[4:5]
	s_add_u32 s14, s14, 8
	s_addc_u32 s15, s15, 0
	s_cbranch_vccnz .LBB0_9
; %bb.7:                                ;   in Loop: Header=BB0_2 Depth=1
	v_mov_b32_e32 v5, v7
	v_mov_b32_e32 v6, v8
	s_branch .LBB0_2
.LBB0_8:
	v_mov_b32_e32 v8, v6
	v_mov_b32_e32 v7, v5
.LBB0_9:
	s_lshl_b64 s[0:1], s[10:11], 3
	s_add_u32 s0, s12, s0
	s_addc_u32 s1, s13, s1
	s_load_dwordx2 s[6:7], s[0:1], 0x0
	s_load_dwordx2 s[10:11], s[4:5], 0x20
                                        ; implicit-def: $vgpr25
	s_waitcnt lgkmcnt(0)
	v_mad_u64_u32 v[1:2], s[0:1], s6, v7, v[1:2]
	s_mov_b32 s0, 0x4924925
	v_mul_lo_u32 v3, s6, v8
	v_mul_lo_u32 v4, s7, v7
	v_mul_hi_u32 v5, v0, s0
	v_cmp_gt_u64_e64 s[0:1], s[10:11], v[7:8]
	v_cmp_le_u64_e32 vcc, s[10:11], v[7:8]
	v_add3_u32 v2, v4, v2, v3
	v_mul_u32_u24_e32 v3, 56, v5
	v_sub_u32_e32 v0, v0, v3
                                        ; implicit-def: $sgpr6
	s_and_saveexec_b64 s[4:5], vcc
	s_xor_b64 s[4:5], exec, s[4:5]
; %bb.10:
	v_or_b32_e32 v25, 0x1c0, v0
	s_mov_b32 s6, 0
; %bb.11:
	s_or_saveexec_b64 s[4:5], s[4:5]
	v_lshlrev_b64 v[2:3], 2, v[1:2]
	v_mov_b32_e32 v11, s6
	v_mov_b32_e32 v1, s6
                                        ; implicit-def: $vgpr12
                                        ; implicit-def: $vgpr7
                                        ; implicit-def: $vgpr13
                                        ; implicit-def: $vgpr24
                                        ; implicit-def: $vgpr14
                                        ; implicit-def: $vgpr9
                                        ; implicit-def: $vgpr15
                                        ; implicit-def: $vgpr6
                                        ; implicit-def: $vgpr16
                                        ; implicit-def: $vgpr19
                                        ; implicit-def: $vgpr17
                                        ; implicit-def: $vgpr8
                                        ; implicit-def: $vgpr18
                                        ; implicit-def: $vgpr23
                                        ; implicit-def: $vgpr20
                                        ; implicit-def: $vgpr10
                                        ; implicit-def: $vgpr21
                                        ; implicit-def: $vgpr27
                                        ; implicit-def: $vgpr34
                                        ; implicit-def: $vgpr26
                                        ; implicit-def: $vgpr35
                                        ; implicit-def: $vgpr29
                                        ; implicit-def: $vgpr36
                                        ; implicit-def: $vgpr28
                                        ; implicit-def: $vgpr37
                                        ; implicit-def: $vgpr30
                                        ; implicit-def: $vgpr38
                                        ; implicit-def: $vgpr33
                                        ; implicit-def: $vgpr39
                                        ; implicit-def: $vgpr31
                                        ; implicit-def: $vgpr40
                                        ; implicit-def: $vgpr46
                                        ; implicit-def: $vgpr41
                                        ; implicit-def: $vgpr32
                                        ; implicit-def: $vgpr42
                                        ; implicit-def: $vgpr47
                                        ; implicit-def: $vgpr43
                                        ; implicit-def: $vgpr45
                                        ; implicit-def: $vgpr44
                                        ; implicit-def: $vgpr48
                                        ; implicit-def: $vgpr22
                                        ; implicit-def: $vgpr49
	s_xor_b64 exec, exec, s[4:5]
	s_cbranch_execz .LBB0_15
; %bb.12:
	v_mov_b32_e32 v1, 0
	v_mov_b32_e32 v4, s3
	v_add_co_u32_e32 v6, vcc, s2, v2
	v_addc_co_u32_e32 v7, vcc, v4, v3, vcc
	v_lshlrev_b64 v[4:5], 2, v[0:1]
                                        ; implicit-def: $vgpr49
                                        ; implicit-def: $vgpr22
	v_add_co_u32_e32 v4, vcc, v6, v4
	v_addc_co_u32_e32 v5, vcc, v7, v5, vcc
	global_load_dword v6, v[4:5], off offset:2576
	global_load_dword v8, v[4:5], off offset:2800
	;; [unrolled: 1-line block ×5, first 2 shown]
	global_load_dword v7, v[4:5], off
	global_load_dword v9, v[4:5], off offset:224
	global_load_dword v19, v[4:5], off offset:448
	;; [unrolled: 1-line block ×8, first 2 shown]
	v_add_co_u32_e32 v11, vcc, 0x1000, v4
	v_addc_co_u32_e32 v12, vcc, 0, v5, vcc
	global_load_dword v24, v[4:5], off offset:2352
	global_load_dword v45, v[4:5], off offset:2016
	;; [unrolled: 1-line block ×6, first 2 shown]
	v_cmp_gt_u32_e32 vcc, 28, v0
	v_mov_b32_e32 v11, v1
	s_and_saveexec_b64 s[6:7], vcc
	s_cbranch_execz .LBB0_14
; %bb.13:
	v_add_co_u32_e32 v11, vcc, 0x1000, v4
	v_addc_co_u32_e32 v12, vcc, 0, v5, vcc
	global_load_dword v1, v[4:5], off offset:2240
	global_load_dword v49, v[11:12], off offset:496
	s_waitcnt vmcnt(1)
	v_lshrrev_b32_e32 v11, 16, v1
	s_waitcnt vmcnt(0)
	v_lshrrev_b32_e32 v22, 16, v49
.LBB0_14:
	s_or_b64 exec, exec, s[6:7]
	s_waitcnt vmcnt(14)
	v_lshrrev_b32_e32 v12, 16, v7
	s_waitcnt vmcnt(5)
	v_lshrrev_b32_e32 v13, 16, v24
	v_lshrrev_b32_e32 v14, 16, v9
	v_lshrrev_b32_e32 v15, 16, v6
	v_lshrrev_b32_e32 v16, 16, v19
	v_lshrrev_b32_e32 v17, 16, v8
	v_lshrrev_b32_e32 v18, 16, v23
	v_lshrrev_b32_e32 v20, 16, v10
	v_lshrrev_b32_e32 v21, 16, v27
	v_lshrrev_b32_e32 v34, 16, v26
	v_lshrrev_b32_e32 v35, 16, v29
	v_lshrrev_b32_e32 v36, 16, v28
	v_lshrrev_b32_e32 v37, 16, v30
	s_waitcnt vmcnt(3)
	v_lshrrev_b32_e32 v38, 16, v33
	v_lshrrev_b32_e32 v39, 16, v31
	s_waitcnt vmcnt(2)
	v_lshrrev_b32_e32 v40, 16, v46
	v_or_b32_e32 v25, 0x1c0, v0
	v_lshrrev_b32_e32 v41, 16, v32
	s_waitcnt vmcnt(1)
	v_lshrrev_b32_e32 v42, 16, v47
	v_lshrrev_b32_e32 v43, 16, v45
	s_waitcnt vmcnt(0)
	v_lshrrev_b32_e32 v44, 16, v48
.LBB0_15:
	s_or_b64 exec, exec, s[4:5]
	v_sub_f16_e32 v4, v7, v24
	v_sub_f16_e32 v6, v9, v6
	v_sub_f16_e32 v8, v19, v8
	v_fma_f16 v5, v7, 2.0, -v4
	v_fma_f16 v7, v9, 2.0, -v6
	;; [unrolled: 1-line block ×3, first 2 shown]
	v_sub_f16_e32 v56, v45, v48
	v_sub_f16_e32 v19, v1, v49
	v_fma_f16 v57, v45, 2.0, -v56
	v_fma_f16 v54, v1, 2.0, -v19
	v_lshl_add_u32 v45, v0, 2, 0
	v_pack_b32_f16 v1, v5, v4
	v_add_u32_e32 v5, 56, v0
	v_sub_f16_e32 v24, v23, v10
	v_sub_f16_e32 v55, v32, v47
	ds_write_b32 v45, v1
	v_lshl_add_u32 v47, v5, 2, 0
	v_pack_b32_f16 v1, v7, v6
	v_add_u32_e32 v4, 0x70, v0
	v_fma_f16 v23, v23, 2.0, -v24
	v_sub_f16_e32 v26, v27, v26
	ds_write_b32 v47, v1
	v_lshl_add_u32 v48, v4, 2, 0
	v_pack_b32_f16 v1, v9, v8
	v_add_u32_e32 v10, 0xa8, v0
	v_fma_f16 v27, v27, 2.0, -v26
	;; [unrolled: 6-line block ×5, first 2 shown]
	ds_write_b32 v51, v1
	v_lshl_add_u32 v52, v7, 2, 0
	v_pack_b32_f16 v1, v30, v33
	v_add_u32_e32 v68, 0x188, v0
	v_fma_f16 v32, v32, 2.0, -v55
	ds_write_b32 v52, v1
	v_lshl_add_u32 v53, v68, 2, 0
	v_pack_b32_f16 v1, v31, v46
	ds_write_b32 v53, v1
	v_lshl_add_u32 v46, v25, 2, 0
	v_pack_b32_f16 v1, v32, v55
	v_add_u32_e32 v70, 0x1f8, v0
	v_add_u32_e32 v23, 0x230, v0
	v_lshlrev_b32_e32 v6, 1, v25
	ds_write_b32 v46, v1
	v_lshl_add_u32 v63, v70, 2, 0
	v_pack_b32_f16 v1, v57, v56
	v_cmp_gt_u32_e32 vcc, 28, v0
	v_lshl_add_u32 v62, v23, 2, 0
	ds_write_b32 v63, v1
	s_and_saveexec_b64 s[4:5], vcc
	s_cbranch_execz .LBB0_17
; %bb.16:
	s_mov_b32 s6, 0x5040100
	v_perm_b32 v1, v19, v54, s6
	ds_write_b32 v62, v1
.LBB0_17:
	s_or_b64 exec, exec, s[4:5]
	v_lshl_add_u32 v1, v0, 1, 0
	s_waitcnt lgkmcnt(0)
	; wave barrier
	s_waitcnt lgkmcnt(0)
	ds_read_u16 v24, v1 offset:1288
	ds_read_u16 v25, v1 offset:1400
	;; [unrolled: 1-line block ×6, first 2 shown]
	ds_read_u16 v69, v1
	ds_read_u16 v64, v1 offset:112
	ds_read_u16 v61, v1 offset:224
	;; [unrolled: 1-line block ×7, first 2 shown]
	v_sub_u32_e32 v32, v46, v6
	ds_read_u16 v30, v1 offset:1960
	ds_read_u16 v31, v1 offset:2072
	;; [unrolled: 1-line block ×4, first 2 shown]
	ds_read_u16 v66, v32
	ds_read_u16 v32, v1 offset:2184
	s_and_saveexec_b64 s[4:5], vcc
	s_cbranch_execz .LBB0_19
; %bb.18:
	ds_read_u16 v54, v1 offset:1120
	ds_read_u16 v19, v1 offset:2296
.LBB0_19:
	s_or_b64 exec, exec, s[4:5]
	v_sub_f16_e32 v13, v12, v13
	v_fma_f16 v12, v12, 2.0, -v13
	v_sub_f16_e32 v15, v14, v15
	v_sub_f16_e32 v71, v35, v36
	;; [unrolled: 1-line block ×3, first 2 shown]
	v_fma_f16 v14, v14, 2.0, -v15
	v_sub_f16_e32 v17, v16, v17
	v_sub_f16_e32 v67, v21, v34
	v_fma_f16 v34, v11, 2.0, -v36
	v_pack_b32_f16 v11, v12, v13
	v_fma_f16 v16, v16, 2.0, -v17
	v_sub_f16_e32 v20, v18, v20
	s_waitcnt lgkmcnt(0)
	; wave barrier
	s_waitcnt lgkmcnt(0)
	ds_write_b32 v45, v11
	v_pack_b32_f16 v11, v14, v15
	v_fma_f16 v18, v18, 2.0, -v20
	ds_write_b32 v47, v11
	v_pack_b32_f16 v11, v16, v17
	v_fma_f16 v21, v21, 2.0, -v67
	;; [unrolled: 3-line block ×3, first 2 shown]
	v_sub_f16_e32 v38, v37, v38
	ds_write_b32 v49, v11
	v_pack_b32_f16 v11, v21, v67
	v_fma_f16 v37, v37, 2.0, -v38
	v_sub_f16_e32 v40, v39, v40
	ds_write_b32 v50, v11
	v_pack_b32_f16 v11, v35, v71
	v_fma_f16 v39, v39, 2.0, -v40
	;; [unrolled: 4-line block ×4, first 2 shown]
	ds_write_b32 v53, v11
	v_pack_b32_f16 v11, v41, v42
	v_sub_u32_e32 v65, 0, v6
	ds_write_b32 v46, v11
	v_pack_b32_f16 v11, v43, v44
	ds_write_b32 v63, v11
	s_and_saveexec_b64 s[4:5], vcc
	s_cbranch_execz .LBB0_21
; %bb.20:
	s_mov_b32 s6, 0x5040100
	v_perm_b32 v11, v36, v34, s6
	ds_write_b32 v62, v11
.LBB0_21:
	s_or_b64 exec, exec, s[4:5]
	s_waitcnt lgkmcnt(0)
	; wave barrier
	s_waitcnt lgkmcnt(0)
	ds_read_u16 v48, v1 offset:1288
	ds_read_u16 v49, v1 offset:1400
	;; [unrolled: 1-line block ×6, first 2 shown]
	ds_read_u16 v47, v1
	ds_read_u16 v45, v1 offset:112
	ds_read_u16 v44, v1 offset:224
	ds_read_u16 v43, v1 offset:336
	ds_read_u16 v41, v1 offset:448
	ds_read_u16 v40, v1 offset:560
	ds_read_u16 v39, v1 offset:672
	ds_read_u16 v38, v1 offset:784
	v_add_u32_e32 v35, v46, v65
	ds_read_u16 v62, v1 offset:1960
	ds_read_u16 v63, v1 offset:2072
	;; [unrolled: 1-line block ×4, first 2 shown]
	ds_read_u16 v46, v35
	ds_read_u16 v65, v1 offset:2184
	v_lshlrev_b32_e32 v13, 1, v0
	v_lshlrev_b32_e32 v14, 1, v5
	;; [unrolled: 1-line block ×9, first 2 shown]
	s_and_saveexec_b64 s[4:5], vcc
	s_cbranch_execz .LBB0_23
; %bb.22:
	ds_read_u16 v34, v1 offset:1120
	ds_read_u16 v36, v1 offset:2296
.LBB0_23:
	s_or_b64 exec, exec, s[4:5]
	v_and_b32_e32 v37, 1, v0
	v_lshlrev_b32_e32 v11, 2, v37
	global_load_dword v68, v11, s[8:9]
	s_movk_i32 s4, 0x7c
	s_waitcnt lgkmcnt(0)
	; wave barrier
	s_waitcnt lgkmcnt(0)
	s_movk_i32 s5, 0x2fc
	v_lshlrev_b32_e32 v23, 1, v23
	s_waitcnt vmcnt(0)
	v_mul_f16_sdwa v11, v67, v68 dst_sel:DWORD dst_unused:UNUSED_PAD src0_sel:DWORD src1_sel:WORD_1
	v_mul_f16_sdwa v78, v36, v68 dst_sel:DWORD dst_unused:UNUSED_PAD src0_sel:DWORD src1_sel:WORD_1
	v_fma_f16 v11, v33, v68, -v11
	v_mul_f16_sdwa v18, v48, v68 dst_sel:DWORD dst_unused:UNUSED_PAD src0_sel:DWORD src1_sel:WORD_1
	v_fma_f16 v78, v19, v68, -v78
	v_fma_f16 v18, v24, v68, -v18
	v_sub_f16_e32 v80, v69, v11
	v_sub_f16_e32 v11, v54, v78
	;; [unrolled: 1-line block ×3, first 2 shown]
	v_fma_f16 v18, v54, 2.0, -v11
	v_and_or_b32 v54, v13, s4, v37
	s_movk_i32 s4, 0xfc
	v_fma_f16 v69, v69, 2.0, -v80
	v_lshl_add_u32 v79, v54, 1, 0
	v_and_or_b32 v54, v14, s4, v37
	s_movk_i32 s4, 0x1fc
	v_fma_f16 v64, v64, 2.0, -v81
	ds_write_b16 v79, v69
	ds_write_b16 v79, v80 offset:4
	v_lshl_add_u32 v80, v54, 1, 0
	v_and_or_b32 v54, v15, s4, v37
	ds_write_b16 v80, v64
	ds_write_b16 v80, v81 offset:4
	v_lshl_add_u32 v81, v54, 1, 0
	v_and_or_b32 v54, v16, s4, v37
	s_movk_i32 s4, 0x3fc
	v_lshl_add_u32 v82, v54, 1, 0
	v_and_or_b32 v54, v17, s4, v37
	v_lshl_add_u32 v83, v54, 1, 0
	v_and_or_b32 v54, v20, s5, v37
	;; [unrolled: 2-line block ×3, first 2 shown]
	v_mul_f16_sdwa v70, v49, v68 dst_sel:DWORD dst_unused:UNUSED_PAD src0_sel:DWORD src1_sel:WORD_1
	v_mul_f16_sdwa v71, v50, v68 dst_sel:DWORD dst_unused:UNUSED_PAD src0_sel:DWORD src1_sel:WORD_1
	v_mul_f16_sdwa v72, v51, v68 dst_sel:DWORD dst_unused:UNUSED_PAD src0_sel:DWORD src1_sel:WORD_1
	v_mul_f16_sdwa v73, v52, v68 dst_sel:DWORD dst_unused:UNUSED_PAD src0_sel:DWORD src1_sel:WORD_1
	v_mul_f16_sdwa v74, v53, v68 dst_sel:DWORD dst_unused:UNUSED_PAD src0_sel:DWORD src1_sel:WORD_1
	v_mul_f16_sdwa v75, v62, v68 dst_sel:DWORD dst_unused:UNUSED_PAD src0_sel:DWORD src1_sel:WORD_1
	v_mul_f16_sdwa v76, v63, v68 dst_sel:DWORD dst_unused:UNUSED_PAD src0_sel:DWORD src1_sel:WORD_1
	v_mul_f16_sdwa v77, v65, v68 dst_sel:DWORD dst_unused:UNUSED_PAD src0_sel:DWORD src1_sel:WORD_1
	v_lshl_add_u32 v85, v54, 1, 0
	v_and_or_b32 v54, v22, s4, v37
	v_fma_f16 v70, v25, v68, -v70
	v_fma_f16 v71, v26, v68, -v71
	;; [unrolled: 1-line block ×8, first 2 shown]
	v_lshl_add_u32 v86, v54, 1, 0
	v_and_or_b32 v54, v6, s4, v37
	s_movk_i32 s4, 0x7fc
	v_sub_f16_e32 v70, v61, v70
	v_sub_f16_e32 v71, v60, v71
	;; [unrolled: 1-line block ×8, first 2 shown]
	v_lshl_add_u32 v87, v54, 1, 0
	v_and_or_b32 v54, v12, s4, v37
	v_fma_f16 v61, v61, 2.0, -v70
	v_fma_f16 v60, v60, 2.0, -v71
	;; [unrolled: 1-line block ×8, first 2 shown]
	v_lshl_add_u32 v88, v54, 1, 0
	ds_write_b16 v81, v61
	ds_write_b16 v81, v70 offset:4
	ds_write_b16 v82, v60
	ds_write_b16 v82, v71 offset:4
	;; [unrolled: 2-line block ×8, first 2 shown]
	s_and_saveexec_b64 s[4:5], vcc
	s_cbranch_execz .LBB0_25
; %bb.24:
	s_movk_i32 s6, 0x4fc
	v_and_or_b32 v54, v23, s6, v37
	v_lshl_add_u32 v54, v54, 1, 0
	ds_write_b16 v54, v18
	ds_write_b16 v54, v11 offset:4
.LBB0_25:
	s_or_b64 exec, exec, s[4:5]
	s_waitcnt lgkmcnt(0)
	; wave barrier
	s_waitcnt lgkmcnt(0)
	ds_read_u16 v54, v1 offset:1288
	ds_read_u16 v55, v1 offset:1400
	;; [unrolled: 1-line block ×6, first 2 shown]
	ds_read_u16 v69, v1
	ds_read_u16 v70, v1 offset:112
	ds_read_u16 v71, v1 offset:224
	;; [unrolled: 1-line block ×11, first 2 shown]
	ds_read_u16 v78, v35
	ds_read_u16 v64, v1 offset:2184
	s_and_saveexec_b64 s[4:5], vcc
	s_cbranch_execz .LBB0_27
; %bb.26:
	ds_read_u16 v18, v1 offset:1120
	ds_read_u16 v11, v1 offset:2296
.LBB0_27:
	s_or_b64 exec, exec, s[4:5]
	v_mul_f16_sdwa v33, v33, v68 dst_sel:DWORD dst_unused:UNUSED_PAD src0_sel:DWORD src1_sel:WORD_1
	v_fma_f16 v33, v67, v68, v33
	v_mul_f16_sdwa v24, v24, v68 dst_sel:DWORD dst_unused:UNUSED_PAD src0_sel:DWORD src1_sel:WORD_1
	v_mul_f16_sdwa v19, v19, v68 dst_sel:DWORD dst_unused:UNUSED_PAD src0_sel:DWORD src1_sel:WORD_1
	v_fma_f16 v24, v48, v68, v24
	v_mul_f16_sdwa v25, v25, v68 dst_sel:DWORD dst_unused:UNUSED_PAD src0_sel:DWORD src1_sel:WORD_1
	v_mul_f16_sdwa v26, v26, v68 dst_sel:DWORD dst_unused:UNUSED_PAD src0_sel:DWORD src1_sel:WORD_1
	;; [unrolled: 1-line block ×8, first 2 shown]
	v_fma_f16 v19, v36, v68, v19
	v_sub_f16_e32 v33, v47, v33
	v_fma_f16 v25, v49, v68, v25
	v_fma_f16 v26, v50, v68, v26
	;; [unrolled: 1-line block ×8, first 2 shown]
	v_fma_f16 v36, v47, 2.0, -v33
	v_sub_f16_e32 v47, v45, v24
	v_sub_f16_e32 v24, v34, v19
	;; [unrolled: 1-line block ×10, first 2 shown]
	v_fma_f16 v19, v34, 2.0, -v24
	v_fma_f16 v45, v45, 2.0, -v47
	;; [unrolled: 1-line block ×10, first 2 shown]
	s_waitcnt lgkmcnt(0)
	; wave barrier
	s_waitcnt lgkmcnt(0)
	ds_write_b16 v79, v36
	ds_write_b16 v79, v33 offset:4
	ds_write_b16 v80, v45
	ds_write_b16 v80, v47 offset:4
	;; [unrolled: 2-line block ×10, first 2 shown]
	s_and_saveexec_b64 s[4:5], vcc
	s_cbranch_execz .LBB0_29
; %bb.28:
	s_movk_i32 s6, 0x4fc
	v_and_or_b32 v25, v23, s6, v37
	v_lshl_add_u32 v25, v25, 1, 0
	ds_write_b16 v25, v19
	ds_write_b16 v25, v24 offset:4
.LBB0_29:
	s_or_b64 exec, exec, s[4:5]
	s_waitcnt lgkmcnt(0)
	; wave barrier
	s_waitcnt lgkmcnt(0)
	ds_read_u16 v38, v1 offset:1288
	ds_read_u16 v39, v1 offset:1400
	;; [unrolled: 1-line block ×6, first 2 shown]
	ds_read_u16 v37, v1
	ds_read_u16 v36, v1 offset:112
	ds_read_u16 v34, v1 offset:224
	;; [unrolled: 1-line block ×11, first 2 shown]
	ds_read_u16 v33, v35
	ds_read_u16 v35, v1 offset:2184
	s_and_saveexec_b64 s[4:5], vcc
	s_cbranch_execz .LBB0_31
; %bb.30:
	ds_read_u16 v19, v1 offset:1120
	ds_read_u16 v24, v1 offset:2296
.LBB0_31:
	s_or_b64 exec, exec, s[4:5]
	v_and_b32_e32 v25, 3, v0
	v_lshlrev_b32_e32 v26, 2, v25
	global_load_dword v26, v26, s[8:9] offset:8
	s_movk_i32 s4, 0x78
	s_movk_i32 s5, 0xf8
	;; [unrolled: 1-line block ×5, first 2 shown]
	v_and_or_b32 v13, v13, s4, v25
	v_and_or_b32 v14, v14, s5, v25
	;; [unrolled: 1-line block ×9, first 2 shown]
	v_lshl_add_u32 v52, v13, 1, 0
	v_lshl_add_u32 v51, v14, 1, 0
	;; [unrolled: 1-line block ×9, first 2 shown]
	s_movk_i32 s11, 0x7f8
	s_waitcnt lgkmcnt(0)
	; wave barrier
	s_waitcnt vmcnt(0) lgkmcnt(0)
	v_mul_f16_sdwa v6, v46, v26 dst_sel:DWORD dst_unused:UNUSED_PAD src0_sel:DWORD src1_sel:WORD_1
	v_mul_f16_sdwa v13, v38, v26 dst_sel:DWORD dst_unused:UNUSED_PAD src0_sel:DWORD src1_sel:WORD_1
	;; [unrolled: 1-line block ×10, first 2 shown]
	v_fma_f16 v6, v66, v26, -v6
	v_fma_f16 v13, v54, v26, -v13
	;; [unrolled: 1-line block ×10, first 2 shown]
	v_sub_f16_e32 v6, v69, v6
	v_sub_f16_e32 v13, v70, v13
	;; [unrolled: 1-line block ×10, first 2 shown]
	v_fma_f16 v67, v69, 2.0, -v6
	v_fma_f16 v68, v70, 2.0, -v13
	;; [unrolled: 1-line block ×9, first 2 shown]
	ds_write_b16 v52, v6 offset:8
	ds_write_b16 v52, v67
	ds_write_b16 v51, v68
	ds_write_b16 v51, v13 offset:8
	ds_write_b16 v50, v69
	ds_write_b16 v50, v14 offset:8
	;; [unrolled: 2-line block ×8, first 2 shown]
	v_and_or_b32 v6, v12, s11, v25
	v_fma_f16 v76, v77, 2.0, -v65
	v_lshl_add_u32 v53, v6, 1, 0
	ds_write_b16 v53, v76
	ds_write_b16 v53, v65 offset:8
	s_and_saveexec_b64 s[4:5], vcc
	s_cbranch_execz .LBB0_33
; %bb.32:
	v_mul_f16_sdwa v6, v24, v26 dst_sel:DWORD dst_unused:UNUSED_PAD src0_sel:DWORD src1_sel:WORD_1
	v_fma_f16 v6, v11, v26, -v6
	s_movk_i32 s6, 0x4f8
	v_sub_f16_e32 v6, v18, v6
	v_and_or_b32 v13, v23, s6, v25
	v_fma_f16 v12, v18, 2.0, -v6
	v_lshl_add_u32 v13, v13, 1, 0
	ds_write_b16 v13, v12
	ds_write_b16 v13, v6 offset:8
.LBB0_33:
	s_or_b64 exec, exec, s[4:5]
	v_mul_f16_sdwa v12, v54, v26 dst_sel:DWORD dst_unused:UNUSED_PAD src0_sel:DWORD src1_sel:WORD_1
	v_mul_f16_sdwa v13, v55, v26 dst_sel:DWORD dst_unused:UNUSED_PAD src0_sel:DWORD src1_sel:WORD_1
	;; [unrolled: 1-line block ×3, first 2 shown]
	v_fma_f16 v12, v38, v26, v12
	v_fma_f16 v13, v39, v26, v13
	v_mul_f16_sdwa v14, v56, v26 dst_sel:DWORD dst_unused:UNUSED_PAD src0_sel:DWORD src1_sel:WORD_1
	v_mul_f16_sdwa v15, v57, v26 dst_sel:DWORD dst_unused:UNUSED_PAD src0_sel:DWORD src1_sel:WORD_1
	;; [unrolled: 1-line block ×7, first 2 shown]
	v_fma_f16 v6, v46, v26, v6
	v_fma_f16 v14, v40, v26, v14
	;; [unrolled: 1-line block ×8, first 2 shown]
	v_sub_f16_e32 v40, v37, v6
	v_sub_f16_e32 v42, v36, v12
	;; [unrolled: 1-line block ×10, first 2 shown]
	v_fma_f16 v41, v37, 2.0, -v40
	v_fma_f16 v43, v36, 2.0, -v42
	;; [unrolled: 1-line block ×10, first 2 shown]
	s_waitcnt lgkmcnt(0)
	; wave barrier
	s_waitcnt lgkmcnt(0)
	ds_read_u16 v18, v1 offset:1680
	ds_read_u16 v17, v1
	ds_read_u16 v16, v1 offset:112
	ds_read_u16 v15, v1 offset:224
	;; [unrolled: 1-line block ×19, first 2 shown]
	s_waitcnt lgkmcnt(0)
	; wave barrier
	s_waitcnt lgkmcnt(0)
	ds_write_b16 v52, v41
	ds_write_b16 v52, v40 offset:8
	ds_write_b16 v51, v43
	ds_write_b16 v51, v42 offset:8
	ds_write_b16 v50, v45
	ds_write_b16 v50, v44 offset:8
	ds_write_b16 v49, v54
	ds_write_b16 v49, v46 offset:8
	ds_write_b16 v48, v56
	ds_write_b16 v48, v55 offset:8
	ds_write_b16 v47, v58
	ds_write_b16 v47, v57 offset:8
	ds_write_b16 v22, v60
	ds_write_b16 v22, v59 offset:8
	ds_write_b16 v21, v62
	ds_write_b16 v21, v61 offset:8
	ds_write_b16 v20, v64
	ds_write_b16 v20, v63 offset:8
	ds_write_b16 v53, v66
	ds_write_b16 v53, v65 offset:8
	s_and_saveexec_b64 s[4:5], vcc
	s_cbranch_execz .LBB0_35
; %bb.34:
	v_mul_f16_sdwa v11, v11, v26 dst_sel:DWORD dst_unused:UNUSED_PAD src0_sel:DWORD src1_sel:WORD_1
	v_fma_f16 v11, v24, v26, v11
	s_movk_i32 s6, 0x4f8
	v_sub_f16_e32 v11, v19, v11
	v_and_or_b32 v20, v23, s6, v25
	v_fma_f16 v19, v19, 2.0, -v11
	v_lshl_add_u32 v20, v20, 1, 0
	ds_write_b16 v20, v19
	ds_write_b16 v20, v11 offset:8
.LBB0_35:
	s_or_b64 exec, exec, s[4:5]
	v_and_b32_e32 v11, 7, v0
	v_lshlrev_b32_e32 v19, 3, v11
	s_waitcnt lgkmcnt(0)
	; wave barrier
	s_waitcnt lgkmcnt(0)
	global_load_dwordx2 v[19:20], v19, s[8:9] offset:24
	ds_read_u16 v21, v1 offset:1680
	ds_read_u16 v22, v1
	ds_read_u16 v23, v1 offset:112
	ds_read_u16 v24, v1 offset:224
	;; [unrolled: 1-line block ×19, first 2 shown]
	s_movk_i32 s4, 0x3aee
	s_mov_b32 s5, 0xbaee
	s_waitcnt lgkmcnt(0)
	; wave barrier
	s_waitcnt lgkmcnt(0)
	v_lshrrev_b32_e32 v10, 3, v10
	v_lshrrev_b32_e32 v9, 3, v9
	;; [unrolled: 1-line block ×4, first 2 shown]
	v_mul_u32_u24_e32 v10, 24, v10
	v_mul_u32_u24_e32 v9, 24, v9
	v_mul_u32_u24_e32 v8, 24, v8
	v_mul_u32_u24_e32 v7, 24, v7
	v_or_b32_e32 v10, v10, v11
	v_or_b32_e32 v9, v9, v11
	;; [unrolled: 1-line block ×4, first 2 shown]
	v_lshl_add_u32 v10, v10, 1, 0
	v_lshl_add_u32 v9, v9, 1, 0
	;; [unrolled: 1-line block ×4, first 2 shown]
	s_movk_i32 s14, 0x2b26
	s_mov_b32 s12, 0xbcab
	s_mov_b32 s6, 0xb9e0
	s_movk_i32 s13, 0x3574
	s_mov_b32 s7, 0xb574
	s_movk_i32 s10, 0x370e
	s_movk_i32 s11, 0x3a52
	s_waitcnt vmcnt(0)
	v_mul_f16_sdwa v55, v46, v19 dst_sel:DWORD dst_unused:UNUSED_PAD src0_sel:DWORD src1_sel:WORD_1
	v_mul_f16_sdwa v57, v48, v20 dst_sel:DWORD dst_unused:UNUSED_PAD src0_sel:DWORD src1_sel:WORD_1
	;; [unrolled: 1-line block ×16, first 2 shown]
	v_fma_f16 v38, v38, v19, -v55
	v_fma_f16 v39, v39, v20, -v57
	v_mul_f16_sdwa v59, v41, v19 dst_sel:DWORD dst_unused:UNUSED_PAD src0_sel:DWORD src1_sel:WORD_1
	v_mul_f16_sdwa v60, v35, v19 dst_sel:DWORD dst_unused:UNUSED_PAD src0_sel:DWORD src1_sel:WORD_1
	;; [unrolled: 1-line block ×12, first 2 shown]
	v_fma_f16 v46, v46, v19, v56
	v_fma_f16 v48, v48, v20, v58
	v_fma_f16 v18, v18, v20, -v61
	v_fma_f16 v21, v21, v20, v62
	v_fma_f16 v37, v37, v20, -v65
	;; [unrolled: 2-line block ×6, first 2 shown]
	v_fma_f16 v20, v54, v20, v82
	v_add_f16_e32 v54, v38, v39
	v_fma_f16 v35, v35, v19, -v59
	v_fma_f16 v41, v41, v19, v60
	v_fma_f16 v33, v33, v19, -v63
	v_fma_f16 v42, v42, v19, v64
	;; [unrolled: 2-line block ×6, first 2 shown]
	v_add_f16_e32 v49, v17, v38
	v_fma_f16 v17, v54, -0.5, v17
	v_sub_f16_e32 v54, v46, v48
	v_fma_f16 v55, v54, s4, v17
	v_fma_f16 v17, v54, s5, v17
	v_add_f16_e32 v54, v22, v46
	v_add_f16_e32 v46, v46, v48
	v_fma_f16 v22, v46, -0.5, v22
	v_sub_f16_e32 v38, v38, v39
	v_add_f16_e32 v46, v35, v18
	v_add_f16_e32 v49, v49, v39
	v_fma_f16 v39, v38, s5, v22
	v_fma_f16 v22, v38, s4, v22
	v_add_f16_e32 v38, v16, v35
	v_fma_f16 v16, v46, -0.5, v16
	v_sub_f16_e32 v46, v41, v21
	v_add_f16_e32 v54, v54, v48
	v_fma_f16 v48, v46, s4, v16
	v_fma_f16 v16, v46, s5, v16
	v_add_f16_e32 v46, v23, v41
	v_add_f16_e32 v46, v46, v21
	;; [unrolled: 1-line block ×4, first 2 shown]
	v_fma_f16 v21, v21, -0.5, v23
	v_sub_f16_e32 v18, v35, v18
	v_add_f16_e32 v35, v33, v37
	v_fma_f16 v23, v18, s5, v21
	v_fma_f16 v18, v18, s4, v21
	v_add_f16_e32 v21, v15, v33
	v_fma_f16 v15, v35, -0.5, v15
	v_sub_f16_e32 v35, v42, v50
	v_fma_f16 v41, v35, s4, v15
	v_fma_f16 v15, v35, s5, v15
	v_add_f16_e32 v35, v24, v42
	v_add_f16_e32 v42, v42, v50
	v_fma_f16 v24, v42, -0.5, v24
	v_sub_f16_e32 v33, v33, v37
	v_add_f16_e32 v42, v31, v36
	v_add_f16_e32 v21, v21, v37
	v_fma_f16 v37, v33, s5, v24
	v_fma_f16 v24, v33, s4, v24
	v_add_f16_e32 v33, v14, v31
	v_fma_f16 v14, v42, -0.5, v14
	v_sub_f16_e32 v42, v43, v51
	v_add_f16_e32 v35, v35, v50
	v_fma_f16 v50, v42, s4, v14
	v_fma_f16 v14, v42, s5, v14
	v_add_f16_e32 v42, v25, v43
	v_add_f16_e32 v43, v43, v51
	v_fma_f16 v25, v43, -0.5, v25
	v_sub_f16_e32 v31, v31, v36
	v_add_f16_e32 v43, v29, v34
	v_add_f16_e32 v33, v33, v36
	v_fma_f16 v36, v31, s5, v25
	v_fma_f16 v25, v31, s4, v25
	v_add_f16_e32 v31, v13, v29
	v_fma_f16 v13, v43, -0.5, v13
	v_sub_f16_e32 v43, v44, v52
	v_add_f16_e32 v42, v42, v51
	;; [unrolled: 14-line block ×4, first 2 shown]
	v_fma_f16 v53, v45, s4, v6
	v_fma_f16 v45, v45, s5, v6
	v_add_f16_e32 v6, v47, v19
	v_add_f16_e32 v56, v6, v20
	v_add_f16_e32 v6, v19, v20
	v_fma_f16 v6, v6, -0.5, v47
	v_sub_f16_e32 v19, v28, v30
	v_fma_f16 v20, v19, s5, v6
	v_fma_f16 v19, v19, s4, v6
	v_lshrrev_b32_e32 v6, 3, v0
	v_mul_u32_u24_e32 v6, 24, v6
	v_or_b32_e32 v6, v6, v11
	v_lshl_add_u32 v28, v6, 1, 0
	v_lshrrev_b32_e32 v6, 3, v5
	v_mul_u32_u24_e32 v6, 24, v6
	v_or_b32_e32 v6, v6, v11
	ds_write_b16 v28, v49
	ds_write_b16 v28, v55 offset:16
	ds_write_b16 v28, v17 offset:32
	v_lshl_add_u32 v17, v6, 1, 0
	v_lshrrev_b32_e32 v6, 3, v4
	ds_write_b16 v17, v38
	ds_write_b16 v17, v48 offset:16
	ds_write_b16 v17, v16 offset:32
	v_mul_u32_u24_e32 v16, 24, v6
	v_or_b32_e32 v16, v16, v11
	v_add_f16_e32 v40, v40, v30
	v_lshl_add_u32 v16, v16, 1, 0
	s_movk_i32 s4, 0xab
	ds_write_b16 v16, v21
	ds_write_b16 v16, v41 offset:16
	ds_write_b16 v16, v15 offset:32
	ds_write_b16 v10, v33
	ds_write_b16 v10, v50 offset:16
	ds_write_b16 v10, v14 offset:32
	;; [unrolled: 3-line block ×5, first 2 shown]
	s_waitcnt lgkmcnt(0)
	; wave barrier
	s_waitcnt lgkmcnt(0)
	ds_read_u16 v29, v1
	ds_read_u16 v30, v1 offset:112
	ds_read_u16 v31, v1 offset:448
	;; [unrolled: 1-line block ×20, first 2 shown]
	s_waitcnt lgkmcnt(0)
	; wave barrier
	s_waitcnt lgkmcnt(0)
	ds_write_b16 v28, v54
	ds_write_b16 v28, v39 offset:16
	ds_write_b16 v28, v22 offset:32
	ds_write_b16 v17, v46
	ds_write_b16 v17, v23 offset:16
	ds_write_b16 v17, v18 offset:32
	;; [unrolled: 3-line block ×7, first 2 shown]
	v_mul_lo_u16_sdwa v7, v0, s4 dst_sel:DWORD dst_unused:UNUSED_PAD src0_sel:BYTE_0 src1_sel:DWORD
	v_lshrrev_b16_e32 v25, 12, v7
	v_mul_lo_u16_e32 v7, 24, v25
	v_sub_u16_e32 v26, v0, v7
	v_mov_b32_e32 v15, 6
	v_mul_u32_u24_sdwa v7, v26, v15 dst_sel:DWORD dst_unused:UNUSED_PAD src0_sel:BYTE_0 src1_sel:DWORD
	v_lshlrev_b32_e32 v11, 2, v7
	s_waitcnt lgkmcnt(0)
	; wave barrier
	s_waitcnt lgkmcnt(0)
	global_load_dwordx4 v[7:10], v11, s[8:9] offset:88
	global_load_dwordx2 v[19:20], v11, s[8:9] offset:104
	v_mul_lo_u16_sdwa v11, v5, s4 dst_sel:DWORD dst_unused:UNUSED_PAD src0_sel:BYTE_0 src1_sel:DWORD
	v_lshrrev_b16_e32 v27, 12, v11
	v_mul_lo_u16_e32 v11, 24, v27
	v_sub_u16_e32 v5, v5, v11
	v_mul_u32_u24_sdwa v11, v5, v15 dst_sel:DWORD dst_unused:UNUSED_PAD src0_sel:BYTE_0 src1_sel:DWORD
	v_lshlrev_b32_e32 v16, 2, v11
	global_load_dwordx4 v[11:14], v16, s[8:9] offset:88
	global_load_dwordx2 v[21:22], v16, s[8:9] offset:104
	v_mul_lo_u16_sdwa v16, v4, s4 dst_sel:DWORD dst_unused:UNUSED_PAD src0_sel:BYTE_0 src1_sel:DWORD
	v_lshrrev_b16_e32 v28, 12, v16
	v_mul_lo_u16_e32 v16, 24, v28
	v_sub_u16_e32 v32, v4, v16
	v_mul_u32_u24_sdwa v15, v32, v15 dst_sel:DWORD dst_unused:UNUSED_PAD src0_sel:BYTE_0 src1_sel:DWORD
	v_lshlrev_b32_e32 v23, 2, v15
	global_load_dwordx4 v[15:18], v23, s[8:9] offset:88
	ds_read_u16 v34, v1
	ds_read_u16 v35, v1 offset:112
	ds_read_u16 v36, v1 offset:448
	;; [unrolled: 1-line block ×5, first 2 shown]
	global_load_dwordx2 v[23:24], v23, s[8:9] offset:104
	ds_read_u16 v43, v1 offset:1792
	ds_read_u16 v44, v1 offset:672
	;; [unrolled: 1-line block ×15, first 2 shown]
	s_movk_i32 s4, 0x3b00
	s_movk_i32 s5, 0x39e0
	s_waitcnt lgkmcnt(0)
	; wave barrier
	s_waitcnt vmcnt(5) lgkmcnt(0)
	v_mul_f16_sdwa v72, v54, v7 dst_sel:DWORD dst_unused:UNUSED_PAD src0_sel:DWORD src1_sel:WORD_1
	v_fma_f16 v72, v48, v7, -v72
	v_mul_f16_sdwa v48, v48, v7 dst_sel:DWORD dst_unused:UNUSED_PAD src0_sel:DWORD src1_sel:WORD_1
	v_fma_f16 v7, v54, v7, v48
	v_mul_f16_sdwa v48, v44, v8 dst_sel:DWORD dst_unused:UNUSED_PAD src0_sel:DWORD src1_sel:WORD_1
	v_fma_f16 v48, v45, v8, -v48
	v_mul_f16_sdwa v45, v45, v8 dst_sel:DWORD dst_unused:UNUSED_PAD src0_sel:DWORD src1_sel:WORD_1
	v_fma_f16 v8, v44, v8, v45
	v_mul_f16_sdwa v44, v66, v9 dst_sel:DWORD dst_unused:UNUSED_PAD src0_sel:DWORD src1_sel:WORD_1
	v_mul_f16_sdwa v45, v55, v9 dst_sel:DWORD dst_unused:UNUSED_PAD src0_sel:DWORD src1_sel:WORD_1
	v_fma_f16 v44, v55, v9, -v44
	v_fma_f16 v9, v66, v9, v45
	v_mul_f16_sdwa v45, v64, v10 dst_sel:DWORD dst_unused:UNUSED_PAD src0_sel:DWORD src1_sel:WORD_1
	v_fma_f16 v45, v52, v10, -v45
	v_mul_f16_sdwa v52, v52, v10 dst_sel:DWORD dst_unused:UNUSED_PAD src0_sel:DWORD src1_sel:WORD_1
	v_fma_f16 v10, v64, v10, v52
	s_waitcnt vmcnt(4)
	v_mul_f16_sdwa v52, v62, v19 dst_sel:DWORD dst_unused:UNUSED_PAD src0_sel:DWORD src1_sel:WORD_1
	v_fma_f16 v52, v50, v19, -v52
	v_mul_f16_sdwa v50, v50, v19 dst_sel:DWORD dst_unused:UNUSED_PAD src0_sel:DWORD src1_sel:WORD_1
	v_fma_f16 v19, v62, v19, v50
	v_mul_f16_sdwa v50, v70, v20 dst_sel:DWORD dst_unused:UNUSED_PAD src0_sel:DWORD src1_sel:WORD_1
	v_mul_f16_sdwa v54, v60, v20 dst_sel:DWORD dst_unused:UNUSED_PAD src0_sel:DWORD src1_sel:WORD_1
	v_fma_f16 v50, v60, v20, -v50
	v_fma_f16 v20, v70, v20, v54
	s_waitcnt vmcnt(3)
	v_mul_f16_sdwa v54, v36, v11 dst_sel:DWORD dst_unused:UNUSED_PAD src0_sel:DWORD src1_sel:WORD_1
	v_fma_f16 v54, v31, v11, -v54
	v_mul_f16_sdwa v31, v31, v11 dst_sel:DWORD dst_unused:UNUSED_PAD src0_sel:DWORD src1_sel:WORD_1
	v_fma_f16 v11, v36, v11, v31
	v_mul_f16_sdwa v31, v37, v12 dst_sel:DWORD dst_unused:UNUSED_PAD src0_sel:DWORD src1_sel:WORD_1
	v_fma_f16 v31, v33, v12, -v31
	v_mul_f16_sdwa v33, v33, v12 dst_sel:DWORD dst_unused:UNUSED_PAD src0_sel:DWORD src1_sel:WORD_1
	v_fma_f16 v12, v37, v12, v33
	v_mul_f16_sdwa v33, v39, v13 dst_sel:DWORD dst_unused:UNUSED_PAD src0_sel:DWORD src1_sel:WORD_1
	v_mul_f16_sdwa v36, v38, v13 dst_sel:DWORD dst_unused:UNUSED_PAD src0_sel:DWORD src1_sel:WORD_1
	v_fma_f16 v33, v38, v13, -v33
	v_fma_f16 v13, v39, v13, v36
	v_mul_f16_sdwa v36, v42, v14 dst_sel:DWORD dst_unused:UNUSED_PAD src0_sel:DWORD src1_sel:WORD_1
	v_mul_f16_sdwa v37, v40, v14 dst_sel:DWORD dst_unused:UNUSED_PAD src0_sel:DWORD src1_sel:WORD_1
	v_fma_f16 v36, v40, v14, -v36
	v_fma_f16 v14, v42, v14, v37
	s_waitcnt vmcnt(2)
	v_mul_f16_sdwa v37, v43, v21 dst_sel:DWORD dst_unused:UNUSED_PAD src0_sel:DWORD src1_sel:WORD_1
	v_mul_f16_sdwa v38, v41, v21 dst_sel:DWORD dst_unused:UNUSED_PAD src0_sel:DWORD src1_sel:WORD_1
	v_fma_f16 v37, v41, v21, -v37
	v_fma_f16 v21, v43, v21, v38
	v_mul_f16_sdwa v38, v68, v22 dst_sel:DWORD dst_unused:UNUSED_PAD src0_sel:DWORD src1_sel:WORD_1
	v_mul_f16_sdwa v39, v58, v22 dst_sel:DWORD dst_unused:UNUSED_PAD src0_sel:DWORD src1_sel:WORD_1
	v_fma_f16 v38, v58, v22, -v38
	v_fma_f16 v22, v68, v22, v39
	s_waitcnt vmcnt(1)
	v_mul_f16_sdwa v39, v46, v15 dst_sel:DWORD dst_unused:UNUSED_PAD src0_sel:DWORD src1_sel:WORD_1
	v_mul_f16_sdwa v40, v47, v15 dst_sel:DWORD dst_unused:UNUSED_PAD src0_sel:DWORD src1_sel:WORD_1
	v_fma_f16 v39, v47, v15, -v39
	v_fma_f16 v15, v46, v15, v40
	v_mul_f16_sdwa v40, v67, v16 dst_sel:DWORD dst_unused:UNUSED_PAD src0_sel:DWORD src1_sel:WORD_1
	v_mul_f16_sdwa v41, v57, v16 dst_sel:DWORD dst_unused:UNUSED_PAD src0_sel:DWORD src1_sel:WORD_1
	v_fma_f16 v40, v57, v16, -v40
	v_fma_f16 v16, v67, v16, v41
	;; [unrolled: 4-line block ×4, first 2 shown]
	s_waitcnt vmcnt(0)
	v_mul_f16_sdwa v43, v71, v23 dst_sel:DWORD dst_unused:UNUSED_PAD src0_sel:DWORD src1_sel:WORD_1
	v_mul_f16_sdwa v46, v61, v23 dst_sel:DWORD dst_unused:UNUSED_PAD src0_sel:DWORD src1_sel:WORD_1
	v_fma_f16 v43, v61, v23, -v43
	v_fma_f16 v23, v71, v23, v46
	v_mul_f16_sdwa v46, v69, v24 dst_sel:DWORD dst_unused:UNUSED_PAD src0_sel:DWORD src1_sel:WORD_1
	v_mul_f16_sdwa v47, v59, v24 dst_sel:DWORD dst_unused:UNUSED_PAD src0_sel:DWORD src1_sel:WORD_1
	v_fma_f16 v46, v59, v24, -v46
	v_fma_f16 v24, v69, v24, v47
	v_add_f16_e32 v47, v72, v50
	v_add_f16_e32 v51, v7, v20
	v_sub_f16_e32 v7, v7, v20
	v_add_f16_e32 v20, v48, v52
	v_add_f16_e32 v53, v8, v19
	v_sub_f16_e32 v50, v72, v50
	v_sub_f16_e32 v48, v48, v52
	;; [unrolled: 1-line block ×3, first 2 shown]
	v_add_f16_e32 v19, v44, v45
	v_add_f16_e32 v52, v9, v10
	v_sub_f16_e32 v44, v45, v44
	v_sub_f16_e32 v9, v10, v9
	v_add_f16_e32 v10, v20, v47
	v_add_f16_e32 v45, v53, v51
	v_sub_f16_e32 v55, v20, v47
	v_sub_f16_e32 v57, v53, v51
	;; [unrolled: 1-line block ×6, first 2 shown]
	v_add_f16_e32 v58, v44, v48
	v_add_f16_e32 v59, v9, v8
	v_sub_f16_e32 v60, v44, v48
	v_sub_f16_e32 v61, v9, v8
	;; [unrolled: 1-line block ×4, first 2 shown]
	v_add_f16_e32 v10, v19, v10
	v_add_f16_e32 v19, v52, v45
	v_sub_f16_e32 v44, v50, v44
	v_sub_f16_e32 v9, v7, v9
	v_add_f16_e32 v45, v58, v50
	v_add_f16_e32 v7, v59, v7
	;; [unrolled: 1-line block ×4, first 2 shown]
	v_mul_f16_e32 v47, 0x3a52, v47
	v_mul_f16_e32 v50, 0x3a52, v51
	;; [unrolled: 1-line block ×8, first 2 shown]
	v_fma_f16 v10, v10, s12, v29
	v_fma_f16 v19, v19, s12, v34
	;; [unrolled: 1-line block ×4, first 2 shown]
	v_fma_f16 v51, v55, s5, -v51
	v_fma_f16 v52, v57, s5, -v52
	;; [unrolled: 1-line block ×4, first 2 shown]
	v_fma_f16 v55, v44, s13, v58
	v_fma_f16 v57, v9, s13, v59
	v_fma_f16 v8, v8, s4, -v59
	v_fma_f16 v44, v44, s7, -v60
	;; [unrolled: 1-line block ×3, first 2 shown]
	v_add_f16_e32 v20, v20, v10
	v_add_f16_e32 v53, v53, v19
	;; [unrolled: 1-line block ×6, first 2 shown]
	v_fma_f16 v50, v7, s10, v57
	v_fma_f16 v8, v7, s10, v8
	;; [unrolled: 1-line block ×4, first 2 shown]
	v_fma_f16 v48, v48, s4, -v58
	v_fma_f16 v47, v45, s10, v55
	v_add_f16_e32 v9, v50, v20
	v_add_f16_e32 v55, v7, v10
	v_sub_f16_e32 v57, v19, v44
	v_sub_f16_e32 v7, v10, v7
	v_add_f16_e32 v44, v44, v19
	v_sub_f16_e32 v10, v20, v50
	v_add_f16_e32 v19, v54, v38
	v_add_f16_e32 v20, v11, v22
	v_sub_f16_e32 v11, v11, v22
	v_add_f16_e32 v22, v31, v37
	v_add_f16_e32 v50, v12, v21
	v_fma_f16 v48, v45, s10, v48
	v_sub_f16_e32 v38, v54, v38
	v_sub_f16_e32 v31, v31, v37
	;; [unrolled: 1-line block ×3, first 2 shown]
	v_add_f16_e32 v21, v33, v36
	v_add_f16_e32 v37, v13, v14
	v_sub_f16_e32 v33, v36, v33
	v_sub_f16_e32 v13, v14, v13
	v_add_f16_e32 v14, v22, v19
	v_add_f16_e32 v36, v50, v20
	v_sub_f16_e32 v45, v53, v47
	v_sub_f16_e32 v58, v51, v8
	v_add_f16_e32 v59, v48, v52
	v_add_f16_e32 v8, v8, v51
	v_sub_f16_e32 v48, v52, v48
	v_add_f16_e32 v47, v47, v53
	v_sub_f16_e32 v51, v22, v19
	v_sub_f16_e32 v52, v50, v20
	;; [unrolled: 1-line block ×6, first 2 shown]
	v_add_f16_e32 v53, v33, v31
	v_add_f16_e32 v54, v13, v12
	v_sub_f16_e32 v60, v33, v31
	v_sub_f16_e32 v61, v13, v12
	;; [unrolled: 1-line block ×4, first 2 shown]
	v_add_f16_e32 v14, v21, v14
	v_add_f16_e32 v21, v37, v36
	v_sub_f16_e32 v33, v38, v33
	v_sub_f16_e32 v13, v11, v13
	v_add_f16_e32 v36, v53, v38
	v_add_f16_e32 v11, v54, v11
	;; [unrolled: 1-line block ×4, first 2 shown]
	v_mul_f16_e32 v19, 0x3a52, v19
	v_mul_f16_e32 v20, 0x3a52, v20
	v_mul_f16_e32 v37, 0x2b26, v22
	v_mul_f16_e32 v38, 0x2b26, v50
	v_mul_f16_e32 v53, 0xb846, v60
	v_mul_f16_e32 v54, 0xb846, v61
	v_mul_f16_e32 v60, 0x3b00, v31
	v_mul_f16_e32 v61, 0x3b00, v12
	v_fma_f16 v14, v14, s12, v30
	v_fma_f16 v21, v21, s12, v35
	;; [unrolled: 1-line block ×4, first 2 shown]
	v_fma_f16 v37, v51, s5, -v37
	v_fma_f16 v38, v52, s5, -v38
	;; [unrolled: 1-line block ×4, first 2 shown]
	v_fma_f16 v51, v33, s13, v53
	v_fma_f16 v52, v13, s13, v54
	v_fma_f16 v12, v12, s4, -v54
	v_fma_f16 v33, v33, s7, -v60
	;; [unrolled: 1-line block ×4, first 2 shown]
	v_add_f16_e32 v22, v22, v14
	v_add_f16_e32 v50, v50, v21
	;; [unrolled: 1-line block ×6, first 2 shown]
	v_fma_f16 v20, v36, s10, v51
	v_fma_f16 v21, v11, s10, v52
	;; [unrolled: 1-line block ×6, first 2 shown]
	v_add_f16_e32 v13, v21, v22
	v_sub_f16_e32 v36, v50, v20
	v_add_f16_e32 v51, v11, v14
	v_sub_f16_e32 v52, v19, v33
	v_sub_f16_e32 v53, v37, v12
	v_add_f16_e32 v12, v12, v37
	v_sub_f16_e32 v11, v14, v11
	v_add_f16_e32 v33, v33, v19
	;; [unrolled: 2-line block ×3, first 2 shown]
	v_add_f16_e32 v19, v39, v46
	v_add_f16_e32 v20, v15, v24
	v_sub_f16_e32 v15, v15, v24
	v_add_f16_e32 v22, v40, v43
	v_add_f16_e32 v24, v16, v23
	;; [unrolled: 1-line block ×3, first 2 shown]
	v_sub_f16_e32 v31, v38, v31
	v_sub_f16_e32 v21, v39, v46
	;; [unrolled: 1-line block ×4, first 2 shown]
	v_add_f16_e32 v23, v41, v42
	v_add_f16_e32 v39, v17, v18
	v_sub_f16_e32 v40, v42, v41
	v_sub_f16_e32 v17, v18, v17
	v_add_f16_e32 v18, v22, v19
	v_add_f16_e32 v41, v24, v20
	v_sub_f16_e32 v42, v22, v19
	v_sub_f16_e32 v43, v24, v20
	;; [unrolled: 1-line block ×6, first 2 shown]
	v_add_f16_e32 v46, v40, v38
	v_add_f16_e32 v50, v17, v16
	v_sub_f16_e32 v60, v40, v38
	v_add_f16_e32 v18, v23, v18
	v_add_f16_e32 v23, v39, v41
	v_sub_f16_e32 v61, v17, v16
	v_sub_f16_e32 v40, v21, v40
	;; [unrolled: 1-line block ×5, first 2 shown]
	v_add_f16_e32 v21, v46, v21
	v_add_f16_e32 v15, v50, v15
	;; [unrolled: 1-line block ×4, first 2 shown]
	v_mul_f16_e32 v19, 0x3a52, v19
	v_mul_f16_e32 v20, 0x3a52, v20
	;; [unrolled: 1-line block ×7, first 2 shown]
	v_fma_f16 v18, v18, s12, v39
	v_fma_f16 v23, v23, s12, v41
	v_fma_f16 v22, v22, s14, v19
	v_fma_f16 v24, v24, s14, v20
	v_fma_f16 v46, v42, s5, -v46
	v_fma_f16 v49, v43, s5, -v49
	v_fma_f16 v19, v42, s6, -v19
	v_fma_f16 v20, v43, s6, -v20
	v_fma_f16 v42, v40, s13, v50
	v_fma_f16 v38, v38, s4, -v50
	v_mul_f16_e32 v61, 0x3b00, v16
	v_fma_f16 v16, v16, s4, -v56
	v_fma_f16 v40, v40, s7, -v60
	v_add_f16_e32 v22, v22, v18
	v_add_f16_e32 v24, v24, v23
	;; [unrolled: 1-line block ×6, first 2 shown]
	v_fma_f16 v20, v21, s10, v42
	v_fma_f16 v38, v21, s10, v38
	;; [unrolled: 1-line block ×5, first 2 shown]
	v_sub_f16_e32 v40, v24, v20
	v_add_f16_e32 v56, v38, v49
	v_sub_f16_e32 v38, v49, v38
	v_add_f16_e32 v49, v20, v24
	v_mov_b32_e32 v20, 1
	v_fma_f16 v23, v15, s10, v43
	v_sub_f16_e32 v43, v19, v21
	v_sub_f16_e32 v50, v46, v16
	v_add_f16_e32 v16, v16, v46
	v_add_f16_e32 v46, v21, v19
	v_mul_u32_u24_e32 v19, 0x150, v25
	v_lshlrev_b32_sdwa v21, v20, v26 dst_sel:DWORD dst_unused:UNUSED_PAD src0_sel:DWORD src1_sel:BYTE_0
	v_add3_u32 v60, 0, v19, v21
	v_fma_f16 v17, v17, s7, -v61
	ds_write_b16 v60, v29
	ds_write_b16 v60, v9 offset:48
	ds_write_b16 v60, v55 offset:96
	;; [unrolled: 1-line block ×6, first 2 shown]
	v_mul_u32_u24_e32 v7, 0x150, v27
	v_lshlrev_b32_sdwa v5, v20, v5 dst_sel:DWORD dst_unused:UNUSED_PAD src0_sel:DWORD src1_sel:BYTE_0
	v_fma_f16 v15, v15, s10, v17
	v_add3_u32 v5, 0, v7, v5
	v_mul_u32_u24_e32 v7, 0x150, v28
	v_lshlrev_b32_sdwa v8, v20, v32 dst_sel:DWORD dst_unused:UNUSED_PAD src0_sel:DWORD src1_sel:BYTE_0
	v_add_f16_e32 v17, v23, v22
	v_add_f16_e32 v42, v15, v18
	v_sub_f16_e32 v15, v18, v15
	v_sub_f16_e32 v18, v22, v23
	v_add3_u32 v28, 0, v7, v8
	ds_write_b16 v5, v30
	ds_write_b16 v5, v13 offset:48
	ds_write_b16 v5, v51 offset:96
	;; [unrolled: 1-line block ×6, first 2 shown]
	ds_write_b16 v28, v39
	ds_write_b16 v28, v17 offset:48
	ds_write_b16 v28, v42 offset:96
	;; [unrolled: 1-line block ×6, first 2 shown]
	s_waitcnt lgkmcnt(0)
	; wave barrier
	s_waitcnt lgkmcnt(0)
	ds_read_u16 v7, v1
	ds_read_u16 v14, v1 offset:112
	ds_read_u16 v19, v1 offset:448
	;; [unrolled: 1-line block ×20, first 2 shown]
	s_waitcnt lgkmcnt(0)
	; wave barrier
	s_waitcnt lgkmcnt(0)
	ds_write_b16 v60, v34
	ds_write_b16 v60, v45 offset:48
	ds_write_b16 v60, v57 offset:96
	ds_write_b16 v60, v59 offset:144
	ds_write_b16 v60, v48 offset:192
	ds_write_b16 v60, v44 offset:240
	ds_write_b16 v60, v47 offset:288
	ds_write_b16 v5, v35
	ds_write_b16 v5, v36 offset:48
	ds_write_b16 v5, v52 offset:96
	ds_write_b16 v5, v54 offset:144
	ds_write_b16 v5, v31 offset:192
	ds_write_b16 v5, v33 offset:240
	ds_write_b16 v5, v37 offset:288
	;; [unrolled: 7-line block ×3, first 2 shown]
	s_waitcnt lgkmcnt(0)
	; wave barrier
	s_waitcnt lgkmcnt(0)
	s_and_saveexec_b64 s[14:15], s[0:1]
	s_cbranch_execz .LBB0_37
; %bb.36:
	v_mul_u32_u24_e32 v5, 6, v4
	v_lshlrev_b32_e32 v5, 2, v5
	global_load_dwordx4 v[28:31], v5, s[8:9] offset:664
	global_load_dwordx2 v[36:37], v5, s[8:9] offset:680
	v_mov_b32_e32 v32, 0xfffffeb0
	v_mov_b32_e32 v5, 0
	v_mad_u32_u24 v4, v4, 6, v32
	v_lshlrev_b64 v[32:33], 2, v[4:5]
	v_mov_b32_e32 v34, s9
	v_add_co_u32_e32 v38, vcc, s8, v32
	v_addc_co_u32_e32 v39, vcc, v34, v33, vcc
	ds_read_u16 v42, v1 offset:896
	ds_read_u16 v43, v1 offset:2240
	ds_read_u16 v44, v1 offset:2128
	ds_read_u16 v45, v1 offset:2016
	ds_read_u16 v46, v1 offset:1904
	ds_read_u16 v47, v1 offset:1792
	ds_read_u16 v48, v1 offset:784
	ds_read_u16 v49, v1 offset:672
	ds_read_u16 v50, v1 offset:560
	ds_read_u16 v51, v1 offset:448
	ds_read_u16 v52, v1 offset:336
	ds_read_u16 v53, v1 offset:224
	ds_read_u16 v54, v1 offset:112
	ds_read_u16 v55, v1 offset:1680
	ds_read_u16 v56, v1 offset:1568
	ds_read_u16 v57, v1 offset:1456
	ds_read_u16 v58, v1 offset:1344
	ds_read_u16 v59, v1 offset:1232
	ds_read_u16 v60, v1 offset:1120
	ds_read_u16 v61, v1 offset:1008
	global_load_dwordx4 v[32:35], v[38:39], off offset:664
	global_load_dwordx2 v[40:41], v[38:39], off offset:680
	ds_read_u16 v1, v1
	v_add_co_u32_e32 v2, vcc, s2, v2
	s_mov_b32 s1, 0x18618619
	v_mul_hi_u32 v6, v6, s1
	s_movk_i32 s0, 0x1000
	s_waitcnt vmcnt(3)
	v_lshrrev_b32_e32 v4, 16, v28
	v_lshrrev_b32_e32 v38, 16, v29
	s_waitcnt vmcnt(2)
	v_lshrrev_b32_e32 v63, 16, v36
	v_lshrrev_b32_e32 v64, 16, v37
	;; [unrolled: 1-line block ×4, first 2 shown]
	s_waitcnt lgkmcnt(14)
	v_mul_f16_e32 v65, v37, v43
	s_waitcnt lgkmcnt(12)
	v_mul_f16_e32 v66, v28, v50
	v_mul_f16_e32 v69, v36, v46
	v_mul_f16_e32 v70, v29, v42
	v_mul_f16_e32 v50, v4, v50
	v_mul_f16_e32 v43, v64, v43
	v_mul_f16_e32 v42, v38, v42
	v_mul_f16_e32 v46, v63, v46
	s_waitcnt lgkmcnt(3)
	v_mul_f16_e32 v67, v30, v59
	v_mul_f16_e32 v68, v31, v56
	;; [unrolled: 1-line block ×4, first 2 shown]
	v_fma_f16 v64, v27, v64, v65
	v_fma_f16 v4, v22, v4, v66
	;; [unrolled: 1-line block ×4, first 2 shown]
	v_fma_f16 v22, v22, v28, -v50
	v_fma_f16 v27, v27, v37, -v43
	;; [unrolled: 1-line block ×4, first 2 shown]
	v_fma_f16 v39, v24, v39, v67
	v_fma_f16 v62, v23, v62, v68
	v_fma_f16 v23, v23, v31, -v56
	v_fma_f16 v24, v24, v30, -v59
	v_sub_f16_e32 v31, v22, v27
	v_sub_f16_e32 v37, v25, v26
	v_add_f16_e32 v22, v22, v27
	v_add_f16_e32 v25, v25, v26
	v_sub_f16_e32 v36, v23, v24
	v_add_f16_e32 v23, v23, v24
	v_add_f16_e32 v66, v22, v25
	v_sub_f16_e32 v59, v22, v23
	v_sub_f16_e32 v26, v23, v25
	v_add_f16_e32 v23, v23, v66
	v_add_f16_e32 v28, v4, v64
	;; [unrolled: 1-line block ×3, first 2 shown]
	v_mul_f16_e32 v26, 0x2b26, v26
	v_add_f16_e32 v66, v21, v23
	v_add_f16_e32 v29, v62, v39
	;; [unrolled: 1-line block ×3, first 2 shown]
	v_mul_f16_e32 v65, 0x3a52, v59
	v_fma_f16 v59, v59, s11, v26
	v_fma_f16 v21, v23, s12, v66
	v_sub_f16_e32 v4, v4, v64
	v_sub_f16_e32 v39, v62, v39
	v_sub_f16_e32 v38, v38, v63
	v_sub_f16_e32 v42, v28, v29
	v_sub_f16_e32 v43, v29, v30
	v_sub_f16_e32 v24, v31, v36
	v_sub_f16_e32 v27, v36, v37
	v_add_f16_e32 v36, v36, v37
	v_add_f16_e32 v29, v29, v46
	;; [unrolled: 1-line block ×3, first 2 shown]
	v_sub_f16_e32 v59, v4, v39
	v_sub_f16_e32 v62, v39, v38
	v_add_f16_e32 v39, v39, v38
	v_mul_f16_e32 v50, 0x3a52, v42
	v_mul_f16_e32 v43, 0x2b26, v43
	;; [unrolled: 1-line block ×3, first 2 shown]
	v_add_f16_e32 v36, v31, v36
	v_add_f16_e32 v46, v53, v29
	v_mul_f16_e32 v62, 0xb846, v62
	v_add_f16_e32 v39, v4, v39
	v_sub_f16_e32 v31, v37, v31
	v_sub_f16_e32 v28, v30, v28
	;; [unrolled: 1-line block ×4, first 2 shown]
	v_fma_f16 v53, v24, s13, v27
	v_fma_f16 v29, v29, s12, v46
	v_fma_f16 v30, v28, s6, -v50
	v_fma_f16 v25, v22, s6, -v65
	v_mul_f16_e32 v38, 0x3b00, v4
	v_fma_f16 v28, v28, s5, -v43
	v_fma_f16 v27, v31, s4, -v27
	;; [unrolled: 1-line block ×4, first 2 shown]
	v_fma_f16 v42, v42, s11, v43
	v_add_f16_e32 v25, v25, v21
	v_add_f16_e32 v28, v28, v29
	v_fma_f16 v27, v36, s10, v27
	v_fma_f16 v4, v39, s10, v4
	v_add_f16_e32 v21, v22, v21
	v_add_f16_e32 v42, v42, v29
	;; [unrolled: 1-line block ×3, first 2 shown]
	v_sub_f16_e32 v29, v28, v27
	v_add_f16_e32 v26, v4, v21
	v_add_f16_e32 v27, v27, v28
	v_sub_f16_e32 v28, v21, v4
	s_waitcnt vmcnt(1)
	v_lshrrev_b32_e32 v4, 16, v32
	v_fma_f16 v63, v59, s13, v62
	v_mul_f16_e32 v37, 0x3b00, v31
	v_fma_f16 v38, v59, s7, -v38
	v_mul_f16_e32 v21, v4, v51
	v_fma_f16 v63, v39, s10, v63
	v_fma_f16 v24, v24, s7, -v37
	v_fma_f16 v38, v39, s10, v38
	v_fma_f16 v39, v19, v32, -v21
	s_waitcnt vmcnt(0)
	v_lshrrev_b32_e32 v21, 16, v41
	v_fma_f16 v53, v36, s10, v53
	v_fma_f16 v24, v36, s10, v24
	v_sub_f16_e32 v50, v25, v38
	v_add_f16_e32 v25, v38, v25
	v_lshrrev_b32_e32 v38, 16, v35
	v_mul_f16_e32 v22, v21, v44
	v_add_f16_e32 v56, v53, v42
	v_add_f16_e32 v37, v24, v30
	v_sub_f16_e32 v24, v30, v24
	v_sub_f16_e32 v30, v42, v53
	v_lshrrev_b32_e32 v31, 16, v33
	v_lshrrev_b32_e32 v36, 16, v34
	;; [unrolled: 1-line block ×3, first 2 shown]
	v_fma_f16 v43, v20, v41, -v22
	v_mul_f16_e32 v22, v38, v57
	v_fma_f16 v59, v17, v35, -v22
	s_waitcnt lgkmcnt(2)
	v_mul_f16_e32 v22, v36, v60
	v_mul_f16_e32 v65, v31, v48
	;; [unrolled: 1-line block ×3, first 2 shown]
	v_fma_f16 v62, v18, v34, -v22
	v_fma_f16 v65, v15, v33, -v65
	;; [unrolled: 1-line block ×3, first 2 shown]
	v_sub_f16_e32 v53, v39, v43
	v_sub_f16_e32 v22, v59, v62
	v_sub_f16_e32 v68, v65, v67
	v_sub_f16_e32 v64, v23, v63
	v_add_f16_e32 v23, v63, v23
	v_sub_f16_e32 v63, v53, v22
	v_sub_f16_e32 v69, v22, v68
	v_add_f16_e32 v22, v22, v68
	v_add_f16_e32 v71, v53, v22
	v_mul_f16_e32 v22, v41, v44
	v_fma_f16 v41, v20, v21, v22
	v_mul_f16_e32 v20, v32, v51
	v_fma_f16 v4, v19, v4, v20
	v_mul_u32_u24_e32 v19, 6, v0
	v_mul_f16_e32 v34, v34, v60
	v_lshlrev_b32_e32 v44, 2, v19
	v_fma_f16 v34, v18, v36, v34
	v_mul_f16_e32 v18, v35, v57
	global_load_dwordx4 v[19:22], v44, s[8:9] offset:664
	v_fma_f16 v35, v17, v38, v18
	global_load_dwordx2 v[17:18], v44, s[8:9] offset:680
	v_mul_f16_e32 v40, v40, v47
	v_mul_f16_e32 v33, v33, v48
	v_fma_f16 v16, v16, v42, v40
	v_fma_f16 v15, v15, v31, v33
	v_add_f16_e32 v32, v4, v41
	v_add_f16_e32 v31, v15, v16
	;; [unrolled: 1-line block ×6, first 2 shown]
	v_sub_f16_e32 v4, v4, v41
	v_sub_f16_e32 v34, v35, v34
	v_sub_f16_e32 v15, v15, v16
	v_sub_f16_e32 v38, v32, v36
	v_sub_f16_e32 v33, v36, v31
	v_add_f16_e32 v36, v36, v40
	v_add_f16_e32 v43, v59, v62
	;; [unrolled: 1-line block ×3, first 2 shown]
	v_sub_f16_e32 v35, v4, v34
	v_sub_f16_e32 v16, v34, v15
	v_add_f16_e32 v34, v34, v15
	v_add_f16_e32 v40, v54, v36
	v_sub_f16_e32 v47, v39, v43
	v_sub_f16_e32 v54, v43, v51
	v_add_f16_e32 v43, v43, v57
	v_add_f16_e32 v34, v4, v34
	v_sub_f16_e32 v4, v15, v4
	v_mul_f16_e32 v48, 0x3a52, v47
	v_add_f16_e32 v14, v14, v43
	v_sub_f16_e32 v53, v68, v53
	v_sub_f16_e32 v39, v51, v39
	v_mul_f16_e32 v15, 0x3b00, v4
	v_mul_f16_e32 v69, 0xb846, v69
	;; [unrolled: 1-line block ×5, first 2 shown]
	v_fma_f16 v43, v43, s12, v14
	v_mul_f16_e32 v16, 0xb846, v16
	v_mul_f16_e32 v59, 0x3b00, v53
	v_sub_f16_e32 v31, v31, v32
	v_fma_f16 v48, v39, s6, -v48
	v_fma_f16 v15, v35, s7, -v15
	v_fma_f16 v70, v63, s13, v69
	v_fma_f16 v38, v38, s11, v33
	;; [unrolled: 1-line block ×4, first 2 shown]
	v_fma_f16 v59, v63, s7, -v59
	v_fma_f16 v32, v31, s6, -v44
	v_add_f16_e32 v48, v48, v43
	v_fma_f16 v15, v34, s10, v15
	v_fma_f16 v4, v4, s4, -v16
	v_fma_f16 v16, v39, s5, -v54
	v_fma_f16 v70, v71, s10, v70
	v_add_f16_e32 v38, v38, v36
	v_fma_f16 v47, v47, s11, v54
	v_fma_f16 v59, v71, s10, v59
	v_add_f16_e32 v32, v32, v36
	v_sub_f16_e32 v35, v48, v15
	v_fma_f16 v31, v31, s5, -v33
	v_fma_f16 v33, v53, s4, -v69
	v_fma_f16 v4, v34, s10, v4
	v_add_f16_e32 v16, v16, v43
	v_add_f16_e32 v15, v15, v48
	v_add_f16_e32 v42, v70, v38
	v_add_f16_e32 v47, v47, v43
	v_fma_f16 v41, v34, s10, v41
	v_add_f16_e32 v44, v59, v32
	v_add_f16_e32 v31, v31, v36
	v_fma_f16 v33, v71, s10, v33
	v_add_f16_e32 v34, v4, v16
	v_sub_f16_e32 v4, v16, v4
	v_sub_f16_e32 v16, v32, v59
	;; [unrolled: 1-line block ×5, first 2 shown]
	v_add_f16_e32 v31, v33, v31
	v_add_f16_e32 v33, v41, v47
	s_waitcnt vmcnt(1)
	v_lshrrev_b32_e32 v38, 16, v19
	v_lshrrev_b32_e32 v39, 16, v20
	s_waitcnt vmcnt(0)
	v_lshrrev_b32_e32 v48, 16, v17
	v_lshrrev_b32_e32 v51, 16, v18
	v_mul_f16_e32 v53, v51, v45
	v_mul_f16_e32 v67, v48, v55
	v_lshrrev_b32_e32 v41, 16, v21
	v_mul_f16_e32 v47, v38, v52
	v_fma_f16 v53, v13, v18, -v53
	v_fma_f16 v67, v9, v17, -v67
	v_mul_f16_e32 v18, v18, v45
	v_mul_f16_e32 v17, v17, v55
	v_lshrrev_b32_e32 v43, 16, v22
	v_fma_f16 v47, v10, v19, -v47
	s_waitcnt lgkmcnt(1)
	v_mul_f16_e32 v60, v41, v61
	v_mul_f16_e32 v65, v39, v49
	v_fma_f16 v13, v13, v51, v18
	v_mul_f16_e32 v18, v19, v52
	v_mul_f16_e32 v19, v21, v61
	v_fma_f16 v9, v9, v48, v17
	v_mul_f16_e32 v17, v20, v49
	v_mul_f16_e32 v59, v43, v58
	v_fma_f16 v60, v12, v21, -v60
	v_fma_f16 v65, v8, v20, -v65
	v_fma_f16 v10, v10, v38, v18
	v_fma_f16 v12, v12, v41, v19
	v_mul_f16_e32 v19, v22, v58
	v_fma_f16 v8, v8, v39, v17
	v_fma_f16 v59, v11, v22, -v59
	v_add_f16_e32 v18, v10, v13
	v_fma_f16 v11, v11, v43, v19
	v_add_f16_e32 v17, v8, v9
	v_add_f16_e32 v19, v11, v12
	;; [unrolled: 1-line block ×3, first 2 shown]
	v_sub_f16_e32 v54, v47, v53
	v_sub_f16_e32 v62, v59, v60
	;; [unrolled: 1-line block ×5, first 2 shown]
	v_add_f16_e32 v19, v19, v38
	v_add_f16_e32 v39, v47, v53
	;; [unrolled: 1-line block ×3, first 2 shown]
	v_sub_f16_e32 v69, v62, v68
	v_mul_f16_e32 v22, 0x3a52, v21
	v_mul_f16_e32 v20, 0x2b26, v20
	s_waitcnt lgkmcnt(0)
	v_add_f16_e32 v38, v1, v19
	v_add_f16_e32 v41, v59, v60
	;; [unrolled: 1-line block ×3, first 2 shown]
	v_sub_f16_e32 v11, v11, v12
	v_sub_f16_e32 v8, v8, v9
	;; [unrolled: 1-line block ×4, first 2 shown]
	v_mul_f16_e32 v69, 0xb846, v69
	v_add_f16_e32 v62, v62, v68
	v_fma_f16 v21, v21, s11, v20
	v_fma_f16 v1, v19, s12, v38
	v_sub_f16_e32 v43, v39, v41
	v_sub_f16_e32 v48, v41, v47
	v_add_f16_e32 v41, v41, v49
	v_sub_f16_e32 v10, v10, v13
	v_sub_f16_e32 v9, v11, v8
	v_sub_f16_e32 v51, v68, v54
	v_fma_f16 v18, v17, s6, -v22
	v_fma_f16 v17, v17, s5, -v20
	v_add_f16_e32 v62, v54, v62
	v_add_f16_e32 v19, v21, v1
	v_mul_f16_e32 v48, 0x2b26, v48
	v_add_f16_e32 v7, v7, v41
	v_sub_f16_e32 v12, v10, v11
	v_mul_f16_e32 v9, 0xb846, v9
	v_add_f16_e32 v11, v11, v8
	v_mul_f16_e32 v52, 0x3b00, v51
	v_add_f16_e32 v18, v18, v1
	v_sub_f16_e32 v39, v47, v39
	v_sub_f16_e32 v8, v8, v10
	v_add_f16_e32 v1, v17, v1
	v_fma_f16 v17, v51, s4, -v69
	v_fma_f16 v70, v63, s13, v69
	v_fma_f16 v41, v41, s12, v7
	;; [unrolled: 1-line block ×3, first 2 shown]
	v_add_f16_e32 v11, v10, v11
	v_fma_f16 v52, v63, s7, -v52
	v_mul_f16_e32 v10, 0x3b00, v8
	v_fma_f16 v17, v62, s10, v17
	v_fma_f16 v8, v8, s4, -v9
	v_fma_f16 v9, v39, s5, -v48
	v_fma_f16 v70, v62, s10, v70
	v_fma_f16 v52, v62, s10, v52
	v_fma_f16 v10, v12, s7, -v10
	v_sub_f16_e32 v20, v1, v17
	v_fma_f16 v8, v11, s10, v8
	v_add_f16_e32 v9, v9, v41
	v_add_f16_e32 v17, v17, v1
	v_mov_b32_e32 v1, v5
	v_add_f16_e32 v21, v70, v19
	v_fma_f16 v13, v11, s10, v13
	v_add_f16_e32 v22, v52, v18
	v_fma_f16 v10, v11, s10, v10
	v_add_f16_e32 v11, v8, v9
	v_sub_f16_e32 v8, v9, v8
	v_sub_f16_e32 v9, v18, v52
	v_sub_f16_e32 v18, v19, v70
	v_mov_b32_e32 v19, s3
	v_lshlrev_b64 v[0:1], 2, v[0:1]
	v_mul_f16_e32 v45, 0x3a52, v43
	v_fma_f16 v43, v43, s11, v48
	v_addc_co_u32_e32 v3, vcc, v19, v3, vcc
	v_add_f16_e32 v43, v43, v41
	v_fma_f16 v45, v39, s6, -v45
	v_add_co_u32_e32 v0, vcc, v2, v0
	v_sub_f16_e32 v49, v43, v13
	v_add_f16_e32 v45, v45, v41
	v_add_f16_e32 v13, v13, v43
	v_addc_co_u32_e32 v1, vcc, v3, v1, vcc
	v_pack_b32_f16 v2, v7, v38
	v_sub_f16_e32 v12, v45, v10
	v_add_f16_e32 v10, v10, v45
	global_store_dword v[0:1], v2, off
	v_pack_b32_f16 v2, v13, v18
	global_store_dword v[0:1], v2, off offset:672
	v_pack_b32_f16 v2, v10, v9
	global_store_dword v[0:1], v2, off offset:1344
	;; [unrolled: 2-line block ×12, first 2 shown]
	v_add_co_u32_e32 v2, vcc, s0, v0
	v_pack_b32_f16 v4, v57, v42
	v_addc_co_u32_e32 v3, vcc, 0, v1, vcc
	global_store_dword v[2:3], v4, off offset:160
	v_lshrrev_b32_e32 v2, 1, v6
	v_mul_u32_u24_e32 v4, 0x3f0, v2
	v_lshlrev_b64 v[2:3], 2, v[4:5]
	v_pack_b32_f16 v4, v66, v46
	v_add_co_u32_e32 v0, vcc, v0, v2
	v_addc_co_u32_e32 v1, vcc, v1, v3, vcc
	global_store_dword v[0:1], v4, off offset:448
	v_pack_b32_f16 v4, v23, v30
	global_store_dword v[0:1], v4, off offset:1120
	v_pack_b32_f16 v4, v25, v24
	;; [unrolled: 2-line block ×3, first 2 shown]
	s_movk_i32 s0, 0x1c0
	global_store_dword v[0:1], v4, off offset:2464
	v_pack_b32_f16 v4, v26, v29
	v_add_co_u32_e32 v2, vcc, s0, v0
	global_store_dword v[0:1], v4, off offset:3136
	v_pack_b32_f16 v4, v50, v37
	v_addc_co_u32_e32 v3, vcc, 0, v1, vcc
	global_store_dword v[0:1], v4, off offset:3808
	v_pack_b32_f16 v0, v64, v56
	global_store_dword v[2:3], v0, off offset:4032
.LBB0_37:
	s_endpgm
	.section	.rodata,"a",@progbits
	.p2align	6, 0x0
	.amdhsa_kernel fft_rtc_fwd_len1176_factors_2_2_2_3_7_7_wgs_56_tpt_56_halfLds_half_ip_CI_unitstride_sbrr_dirReg
		.amdhsa_group_segment_fixed_size 0
		.amdhsa_private_segment_fixed_size 0
		.amdhsa_kernarg_size 88
		.amdhsa_user_sgpr_count 6
		.amdhsa_user_sgpr_private_segment_buffer 1
		.amdhsa_user_sgpr_dispatch_ptr 0
		.amdhsa_user_sgpr_queue_ptr 0
		.amdhsa_user_sgpr_kernarg_segment_ptr 1
		.amdhsa_user_sgpr_dispatch_id 0
		.amdhsa_user_sgpr_flat_scratch_init 0
		.amdhsa_user_sgpr_private_segment_size 0
		.amdhsa_uses_dynamic_stack 0
		.amdhsa_system_sgpr_private_segment_wavefront_offset 0
		.amdhsa_system_sgpr_workgroup_id_x 1
		.amdhsa_system_sgpr_workgroup_id_y 0
		.amdhsa_system_sgpr_workgroup_id_z 0
		.amdhsa_system_sgpr_workgroup_info 0
		.amdhsa_system_vgpr_workitem_id 0
		.amdhsa_next_free_vgpr 89
		.amdhsa_next_free_sgpr 22
		.amdhsa_reserve_vcc 1
		.amdhsa_reserve_flat_scratch 0
		.amdhsa_float_round_mode_32 0
		.amdhsa_float_round_mode_16_64 0
		.amdhsa_float_denorm_mode_32 3
		.amdhsa_float_denorm_mode_16_64 3
		.amdhsa_dx10_clamp 1
		.amdhsa_ieee_mode 1
		.amdhsa_fp16_overflow 0
		.amdhsa_exception_fp_ieee_invalid_op 0
		.amdhsa_exception_fp_denorm_src 0
		.amdhsa_exception_fp_ieee_div_zero 0
		.amdhsa_exception_fp_ieee_overflow 0
		.amdhsa_exception_fp_ieee_underflow 0
		.amdhsa_exception_fp_ieee_inexact 0
		.amdhsa_exception_int_div_zero 0
	.end_amdhsa_kernel
	.text
.Lfunc_end0:
	.size	fft_rtc_fwd_len1176_factors_2_2_2_3_7_7_wgs_56_tpt_56_halfLds_half_ip_CI_unitstride_sbrr_dirReg, .Lfunc_end0-fft_rtc_fwd_len1176_factors_2_2_2_3_7_7_wgs_56_tpt_56_halfLds_half_ip_CI_unitstride_sbrr_dirReg
                                        ; -- End function
	.section	.AMDGPU.csdata,"",@progbits
; Kernel info:
; codeLenInByte = 13224
; NumSgprs: 26
; NumVgprs: 89
; ScratchSize: 0
; MemoryBound: 0
; FloatMode: 240
; IeeeMode: 1
; LDSByteSize: 0 bytes/workgroup (compile time only)
; SGPRBlocks: 3
; VGPRBlocks: 22
; NumSGPRsForWavesPerEU: 26
; NumVGPRsForWavesPerEU: 89
; Occupancy: 2
; WaveLimiterHint : 1
; COMPUTE_PGM_RSRC2:SCRATCH_EN: 0
; COMPUTE_PGM_RSRC2:USER_SGPR: 6
; COMPUTE_PGM_RSRC2:TRAP_HANDLER: 0
; COMPUTE_PGM_RSRC2:TGID_X_EN: 1
; COMPUTE_PGM_RSRC2:TGID_Y_EN: 0
; COMPUTE_PGM_RSRC2:TGID_Z_EN: 0
; COMPUTE_PGM_RSRC2:TIDIG_COMP_CNT: 0
	.type	__hip_cuid_c4c6d16cca8f1175,@object ; @__hip_cuid_c4c6d16cca8f1175
	.section	.bss,"aw",@nobits
	.globl	__hip_cuid_c4c6d16cca8f1175
__hip_cuid_c4c6d16cca8f1175:
	.byte	0                               ; 0x0
	.size	__hip_cuid_c4c6d16cca8f1175, 1

	.ident	"AMD clang version 19.0.0git (https://github.com/RadeonOpenCompute/llvm-project roc-6.4.0 25133 c7fe45cf4b819c5991fe208aaa96edf142730f1d)"
	.section	".note.GNU-stack","",@progbits
	.addrsig
	.addrsig_sym __hip_cuid_c4c6d16cca8f1175
	.amdgpu_metadata
---
amdhsa.kernels:
  - .args:
      - .actual_access:  read_only
        .address_space:  global
        .offset:         0
        .size:           8
        .value_kind:     global_buffer
      - .offset:         8
        .size:           8
        .value_kind:     by_value
      - .actual_access:  read_only
        .address_space:  global
        .offset:         16
        .size:           8
        .value_kind:     global_buffer
      - .actual_access:  read_only
        .address_space:  global
        .offset:         24
        .size:           8
        .value_kind:     global_buffer
      - .offset:         32
        .size:           8
        .value_kind:     by_value
      - .actual_access:  read_only
        .address_space:  global
        .offset:         40
        .size:           8
        .value_kind:     global_buffer
      - .actual_access:  read_only
        .address_space:  global
        .offset:         48
        .size:           8
        .value_kind:     global_buffer
      - .offset:         56
        .size:           4
        .value_kind:     by_value
      - .actual_access:  read_only
        .address_space:  global
        .offset:         64
        .size:           8
        .value_kind:     global_buffer
      - .actual_access:  read_only
        .address_space:  global
        .offset:         72
        .size:           8
        .value_kind:     global_buffer
      - .address_space:  global
        .offset:         80
        .size:           8
        .value_kind:     global_buffer
    .group_segment_fixed_size: 0
    .kernarg_segment_align: 8
    .kernarg_segment_size: 88
    .language:       OpenCL C
    .language_version:
      - 2
      - 0
    .max_flat_workgroup_size: 56
    .name:           fft_rtc_fwd_len1176_factors_2_2_2_3_7_7_wgs_56_tpt_56_halfLds_half_ip_CI_unitstride_sbrr_dirReg
    .private_segment_fixed_size: 0
    .sgpr_count:     26
    .sgpr_spill_count: 0
    .symbol:         fft_rtc_fwd_len1176_factors_2_2_2_3_7_7_wgs_56_tpt_56_halfLds_half_ip_CI_unitstride_sbrr_dirReg.kd
    .uniform_work_group_size: 1
    .uses_dynamic_stack: false
    .vgpr_count:     89
    .vgpr_spill_count: 0
    .wavefront_size: 64
amdhsa.target:   amdgcn-amd-amdhsa--gfx906
amdhsa.version:
  - 1
  - 2
...

	.end_amdgpu_metadata
